;; amdgpu-corpus repo=ROCm/aiter kind=harvested arch=n/a opt=n/a

/root/src/amdgpu-assembly/repos/ROCm__aiter/hsa/gfx942/bf16gemm/bf16gemm_fp32bf16_tn_96x64_pf3_splitk.co:	file format elf64-amdgpu

Disassembly of section .text:

0000000000002900 <_ZN5aiter37bf16gemm_fp32bf16_tn_96x64_pf3_splitkE>:
	s_mov_b32 s49, s4                                          // 000000002900: BEB10004
	s_and_b32 s1, s1, 0xffff                                   // 000000002904: 8601FF01 0000FFFF
	s_load_dword s25, s[0:1], 0xe0                             // 00000000290C: C0020640 000000E0
	s_load_dword s26, s[0:1], 0xf0                             // 000000002914: C0020680 000000F0
	s_load_dword s27, s[0:1], 0x100                            // 00000000291C: C00206C0 00000100
	s_load_dword s28, s[0:1], 0xa0                             // 000000002924: C0020700 000000A0
	s_load_dword s29, s[0:1], 0xc0                             // 00000000292C: C0020740 000000C0
	s_load_dword s30, s[0:1], 0x80                             // 000000002934: C0020780 00000080
	s_load_dword s20, s[0:1], 0x40                             // 00000000293C: C0020500 00000040
	s_load_dword s21, s[0:1], 0x50                             // 000000002944: C0020540 00000050
	s_load_dwordx2 s[4:5], s[0:1], 0x20                        // 00000000294C: C0060100 00000020
	s_load_dwordx2 s[8:9], s[0:1], 0x30                        // 000000002954: C0060200 00000030
	s_load_dwordx2 s[12:13], s[0:1], 0x10                      // 00000000295C: C0060300 00000010
	s_load_dwordx2 s[16:17], s[0:1], 0x0                       // 000000002964: C0060400 00000000
	s_load_dword s48, s[0:1], 0x110                            // 00000000296C: C0020C00 00000110
	s_load_dword s50, s[0:1], 0x120                            // 000000002974: C0020C80 00000120
	s_load_dwordx2 s[36:37], s[0:1], 0x130                     // 00000000297C: C0060900 00000130
	s_load_dword s57, s[0:1], 0x140                            // 000000002984: C0020E40 00000140
	v_lshrrev_b32_e32 v1, 10, v0                               // 00000000298C: 2002008A
	v_lshrrev_b32_e32 v2, 10, v1                               // 000000002990: 2004028A
	v_and_b32_e32 v2, 0x3ff, v2                                // 000000002994: 260404FF 000003FF
	v_and_b32_e32 v1, 0x3ff, v1                                // 00000000299C: 260202FF 000003FF
	v_and_b32_e32 v0, 0x3ff, v0                                // 0000000029A4: 260000FF 000003FF
	v_lshrrev_b32_e32 v3, 6, v0                                // 0000000029AC: 20060086
	v_and_b32_e32 v0, 63, v0                                   // 0000000029B0: 260000BF
	s_mov_b32 s22, s2                                          // 0000000029B4: BE960002
	s_mov_b32 s23, s3                                          // 0000000029B8: BE970003
	v_readfirstlane_b32 s24, v3                                // 0000000029BC: 7E300503
	s_waitcnt lgkmcnt(0)                                       // 0000000029C0: BF8CC07F
	s_mov_b32 s18, -16                                         // 0000000029C4: BE9200D0
	s_mov_b32 s14, -16                                         // 0000000029C8: BE8E00D0
	s_mov_b32 s10, -16                                         // 0000000029CC: BE8A00D0
	s_mov_b32 s6, -16                                          // 0000000029D0: BE8600D0
	s_mov_b32 s38, -16                                         // 0000000029D4: BEA600D0
	s_mov_b32 s19, 0x20000                                     // 0000000029D8: BE9300FF 00020000
	s_mov_b32 s15, 0x20000                                     // 0000000029E0: BE8F00FF 00020000
	s_mov_b32 s11, 0x20000                                     // 0000000029E8: BE8B00FF 00020000
	s_mov_b32 s7, 0x20000                                      // 0000000029F0: BE8700FF 00020000
	s_mov_b32 s39, 0x20000                                     // 0000000029F8: BEA700FF 00020000
	s_and_b32 s17, s17, 0xffff                                 // 000000002A00: 8611FF11 0000FFFF
	s_and_b32 s13, s13, 0xffff                                 // 000000002A08: 860DFF0D 0000FFFF
	s_and_b32 s9, s9, 0xffff                                   // 000000002A10: 8609FF09 0000FFFF
	s_and_b32 s5, s5, 0xffff                                   // 000000002A18: 8605FF05 0000FFFF
	s_and_b32 s37, s37, 0xffff                                 // 000000002A20: 8625FF25 0000FFFF
	s_or_b32 s17, s17, 0x40000                                 // 000000002A28: 8711FF11 00040000
	s_or_b32 s13, s13, 0x40000                                 // 000000002A30: 870DFF0D 00040000
	s_or_b32 s9, s9, 0x40000                                   // 000000002A38: 8709FF09 00040000
	s_or_b32 s5, s5, 0x40000                                   // 000000002A40: 8705FF05 00040000
	s_or_b32 s37, s37, 0x40000                                 // 000000002A48: 8725FF25 00040000
	s_mov_b32 s35, 0x7060302                                   // 000000002A50: BEA300FF 07060302
	v_mov_b32_e32 v9, 0xffff0000                               // 000000002A58: 7E1202FF FFFF0000
	v_mov_b32_e32 v10, 0x7fff0000                              // 000000002A60: 7E1402FF 7FFF0000
	v_mov_b32_e32 v11, 0x7fff                                  // 000000002A68: 7E1602FF 00007FFF
	s_mul_i32 s31, s28, s25                                    // 000000002A70: 921F191C
	s_mov_b32 s6, s31                                          // 000000002A74: BE86001F
	s_mov_b32 s40, 0x80                                        // 000000002A78: BEA800FF 00000080
	v_lshrrev_b32_e32 v4, 5, v0                                // 000000002A80: 20080085
	v_lshlrev_b32_e32 v4, 2, v4                                // 000000002A84: 24080882
	v_mul_lo_u32 v19, v4, s28                                  // 000000002A88: D2850013 00003904
	v_and_b32_e32 v4, 31, v0                                   // 000000002A90: 2608009F
	v_lshlrev_b32_e32 v4, 2, v4                                // 000000002A94: 24080882
	v_add_u32_e32 v19, v19, v4                                 // 000000002A98: 68260913
	s_mul_i32 s31, 8, s28                                      // 000000002A9C: 921F1C88
	v_add_u32_e64 v20, v19, s31                                // 000000002AA0: D1340014 00003F13
	v_add_u32_e64 v21, v20, s31                                // 000000002AA8: D1340015 00003F14
	v_add_u32_e64 v22, v21, s31                                // 000000002AB0: D1340016 00003F15
	v_add_u32_e64 v23, v22, s31                                // 000000002AB8: D1340017 00003F16
	v_add_u32_e64 v24, v23, s31                                // 000000002AC0: D1340018 00003F17
	v_add_u32_e64 v25, v24, s31                                // 000000002AC8: D1340019 00003F18
	v_add_u32_e64 v26, v25, s31                                // 000000002AD0: D134001A 00003F19
	v_add_u32_e64 v27, v26, s31                                // 000000002AD8: D134001B 00003F1A
	v_add_u32_e64 v28, v27, s31                                // 000000002AE0: D134001C 00003F1B
	v_add_u32_e64 v29, v28, s31                                // 000000002AE8: D134001D 00003F1C
	v_add_u32_e64 v30, v29, s31                                // 000000002AF0: D134001E 00003F1D
	s_mul_i32 s31, s23, 0x60                                   // 000000002AF8: 921FFF17 00000060
	s_add_u32 s31, s31, s24                                    // 000000002B00: 801F181F
	s_mul_i32 s32, s31, s28                                    // 000000002B04: 92201C1F
	v_add_u32_e64 v19, v19, s32                                // 000000002B08: D1340013 00004113
	v_add_u32_e64 v20, v20, s32                                // 000000002B10: D1340014 00004114
	v_add_u32_e64 v21, v21, s32                                // 000000002B18: D1340015 00004115
	v_add_u32_e64 v22, v22, s32                                // 000000002B20: D1340016 00004116
	v_add_u32_e64 v23, v23, s32                                // 000000002B28: D1340017 00004117
	v_add_u32_e64 v24, v24, s32                                // 000000002B30: D1340018 00004118
	v_add_u32_e64 v25, v25, s32                                // 000000002B38: D1340019 00004119
	v_add_u32_e64 v26, v26, s32                                // 000000002B40: D134001A 0000411A
	v_add_u32_e64 v27, v27, s32                                // 000000002B48: D134001B 0000411B
	v_add_u32_e64 v28, v28, s32                                // 000000002B50: D134001C 0000411C
	v_add_u32_e64 v29, v29, s32                                // 000000002B58: D134001D 0000411D
	v_add_u32_e64 v30, v30, s32                                // 000000002B60: D134001E 0000411E
	v_lshrrev_b32_e32 v4, 4, v0                                // 000000002B68: 20080084
	v_lshlrev_b32_e32 v5, 2, v4                                // 000000002B6C: 240A0882
	v_and_b32_e32 v4, 15, v0                                   // 000000002B70: 2608008F
	v_lshrrev_b32_e32 v6, 2, v4                                // 000000002B74: 200C0882
	v_lshlrev_b32_e32 v6, 5, v6                                // 000000002B78: 240C0C85
	v_add_u32_e32 v5, v6, v5                                   // 000000002B7C: 680A0B06
	v_and_b32_e32 v4, 3, v0                                    // 000000002B80: 26080083
	v_mul_u32_u24_e32 v6, 0x308, v4                            // 000000002B84: 100C08FF 00000308
	v_add_u32_e32 v5, v6, v5                                   // 000000002B8C: 680A0B06
	v_lshlrev_b32_e32 v31, 2, v5                               // 000000002B90: 243E0A82
	s_mul_i32 s31, s24, 0xc20                                  // 000000002B94: 921FFF18 00000C20
	s_add_u32 s42, 0, s31                                      // 000000002B9C: 802A1F80
	s_add_u32 s43, 0x3080, s42                                 // 000000002BA0: 802B2AFF 00003080
	s_add_u32 s44, 0x3080, s43                                 // 000000002BA8: 802C2BFF 00003080
	s_mul_i32 s31, s29, s26                                    // 000000002BB0: 921F1A1D
	s_mov_b32 s10, s31                                         // 000000002BB4: BE8A001F
	s_mov_b32 s41, 0x80                                        // 000000002BB8: BEA900FF 00000080
	v_lshrrev_b32_e32 v4, 5, v0                                // 000000002BC0: 20080085
	v_lshlrev_b32_e32 v4, 2, v4                                // 000000002BC4: 24080882
	v_mul_lo_u32 v32, v4, s29                                  // 000000002BC8: D2850020 00003B04
	v_and_b32_e32 v4, 31, v0                                   // 000000002BD0: 2608009F
	v_lshlrev_b32_e32 v4, 2, v4                                // 000000002BD4: 24080882
	v_add_u32_e32 v32, v32, v4                                 // 000000002BD8: 68400920
	s_mul_i32 s31, 8, s29                                      // 000000002BDC: 921F1D88
	v_add_u32_e64 v33, v32, s31                                // 000000002BE0: D1340021 00003F20
	v_add_u32_e64 v34, v33, s31                                // 000000002BE8: D1340022 00003F21
	v_add_u32_e64 v35, v34, s31                                // 000000002BF0: D1340023 00003F22
	v_add_u32_e64 v36, v35, s31                                // 000000002BF8: D1340024 00003F23
	v_add_u32_e64 v37, v36, s31                                // 000000002C00: D1340025 00003F24
	v_add_u32_e64 v38, v37, s31                                // 000000002C08: D1340026 00003F25
	v_add_u32_e64 v39, v38, s31                                // 000000002C10: D1340027 00003F26
	s_mul_i32 s31, s22, 64                                     // 000000002C18: 921FC016
	s_add_u32 s31, s31, s24                                    // 000000002C1C: 801F181F
	s_mul_i32 s32, s31, s29                                    // 000000002C20: 92201D1F
	v_add_u32_e64 v32, v32, s32                                // 000000002C24: D1340020 00004120
	v_add_u32_e64 v33, v33, s32                                // 000000002C2C: D1340021 00004121
	v_add_u32_e64 v34, v34, s32                                // 000000002C34: D1340022 00004122
	v_add_u32_e64 v35, v35, s32                                // 000000002C3C: D1340023 00004123
	v_add_u32_e64 v36, v36, s32                                // 000000002C44: D1340024 00004124
	v_add_u32_e64 v37, v37, s32                                // 000000002C4C: D1340025 00004125
	v_add_u32_e64 v38, v38, s32                                // 000000002C54: D1340026 00004126
	v_add_u32_e64 v39, v39, s32                                // 000000002C5C: D1340027 00004127
	s_cmp_le_u32 s48, 1                                        // 000000002C64: BF0B8130
	s_cbranch_scc1 label_012C                                  // 000000002C68: BF850051
	s_lshr_b32 s32, s27, 6                                     // 000000002C6C: 8F20861B
	v_cvt_f32_u32_e32 v4, s48                                  // 000000002C70: 7E080C30
	s_sub_i32 s31, 0, s48                                      // 000000002C74: 819F3080
	v_rcp_iflag_f32_e32 v4, v4                                 // 000000002C78: 7E084704
	s_nop 0                                                    // 000000002C7C: BF800000
	v_mul_f32_e32 v4, 0x4f7ffffe, v4                           // 000000002C80: 0A0808FF 4F7FFFFE
	v_cvt_u32_f32_e32 v4, v4                                   // 000000002C88: 7E080F04
	v_mul_lo_u32 v5, s31, v4                                   // 000000002C8C: D2850005 0002081F
	v_mul_hi_u32 v5, v4, v5                                    // 000000002C94: D2860005 00020B04
	v_add_u32_e32 v4, v4, v5                                   // 000000002C9C: 68080B04
	v_mul_hi_u32 v4, s32, v4                                   // 000000002CA0: D2860004 00020820
	v_mul_lo_u32 v5, v4, s48                                   // 000000002CA8: D2850005 00006104
	v_sub_u32_e32 v7, s32, v5                                  // 000000002CB0: 6A0E0A20
	v_add_u32_e32 v6, 1, v4                                    // 000000002CB4: 680C0881
	v_cmp_le_u32_e32 vcc, s48, v7                              // 000000002CB8: 7D960E30
	v_subrev_u32_e32 v5, s48, v7                               // 000000002CBC: 6C0A0E30
	s_nop 0                                                    // 000000002CC0: BF800000
	v_cndmask_b32_e32 v4, v4, v6, vcc                          // 000000002CC4: 00080D04
	v_cndmask_b32_e32 v7, v7, v5, vcc                          // 000000002CC8: 000E0B07
	v_add_u32_e32 v5, 1, v4                                    // 000000002CCC: 680A0881
	v_cmp_le_u32_e32 vcc, s48, v7                              // 000000002CD0: 7D960E30
	s_nop 1                                                    // 000000002CD4: BF800001
	v_cndmask_b32_e32 v7, v4, v5, vcc                          // 000000002CD8: 000E0B04
	s_nop 3                                                    // 000000002CDC: BF800003
	v_readfirstlane_b32 s32, v7                                // 000000002CE0: 7E400507
	s_nop 3                                                    // 000000002CE4: BF800003
	s_mul_i32 s32, s32, 64                                     // 000000002CE8: 9220C020
	s_mul_i32 s31, s49, s32                                    // 000000002CEC: 921F2031
	s_sub_i32 s52, s27, s31                                    // 000000002CF0: 81B41F1B
	s_sub_i32 s31, s48, 1                                      // 000000002CF4: 819F8130
	s_cmp_eq_i32 s49, s31                                      // 000000002CF8: BF001F31
	s_cselect_b32 s27, s52, s32                                // 000000002CFC: 851B2034
	s_mul_i32 s31, s32, 2                                      // 000000002D00: 921F8220
	s_mul_i32 s31, s31, s49                                    // 000000002D04: 921F311F
	v_add_u32_e64 v19, v19, s31                                // 000000002D08: D1340013 00003F13
	v_add_u32_e64 v20, v20, s31                                // 000000002D10: D1340014 00003F14
	v_add_u32_e64 v21, v21, s31                                // 000000002D18: D1340015 00003F15
	v_add_u32_e64 v22, v22, s31                                // 000000002D20: D1340016 00003F16
	v_add_u32_e64 v23, v23, s31                                // 000000002D28: D1340017 00003F17
	v_add_u32_e64 v24, v24, s31                                // 000000002D30: D1340018 00003F18
	v_add_u32_e64 v25, v25, s31                                // 000000002D38: D1340019 00003F19
	v_add_u32_e64 v26, v26, s31                                // 000000002D40: D134001A 00003F1A
	v_add_u32_e64 v27, v27, s31                                // 000000002D48: D134001B 00003F1B
	v_add_u32_e64 v28, v28, s31                                // 000000002D50: D134001C 00003F1C
	v_add_u32_e64 v29, v29, s31                                // 000000002D58: D134001D 00003F1D
	v_add_u32_e64 v30, v30, s31                                // 000000002D60: D134001E 00003F1E
	s_mul_i32 s31, s32, 2                                      // 000000002D68: 921F8220
	s_mul_i32 s31, s31, s49                                    // 000000002D6C: 921F311F
	v_add_u32_e64 v32, v32, s31                                // 000000002D70: D1340020 00003F20
	v_add_u32_e64 v33, v33, s31                                // 000000002D78: D1340021 00003F21
	v_add_u32_e64 v34, v34, s31                                // 000000002D80: D1340022 00003F22
	v_add_u32_e64 v35, v35, s31                                // 000000002D88: D1340023 00003F23
	v_add_u32_e64 v36, v36, s31                                // 000000002D90: D1340024 00003F24
	v_add_u32_e64 v37, v37, s31                                // 000000002D98: D1340025 00003F25
	v_add_u32_e64 v38, v38, s31                                // 000000002DA0: D1340026 00003F26
	v_add_u32_e64 v39, v39, s31                                // 000000002DA8: D1340027 00003F27

0000000000002db0 <label_012C>:
	v_lshrrev_b32_e32 v4, 4, v0                                // 000000002DB0: 20080084
	v_lshlrev_b32_e32 v5, 2, v4                                // 000000002DB4: 240A0882
	v_and_b32_e32 v4, 15, v0                                   // 000000002DB8: 2608008F
	v_lshrrev_b32_e32 v6, 2, v4                                // 000000002DBC: 200C0882
	v_lshlrev_b32_e32 v6, 5, v6                                // 000000002DC0: 240C0C85
	v_add_u32_e32 v5, v6, v5                                   // 000000002DC4: 680A0B06
	v_and_b32_e32 v4, 3, v0                                    // 000000002DC8: 26080083
	v_mul_u32_u24_e32 v6, 0x208, v4                            // 000000002DCC: 100C08FF 00000208
	v_add_u32_e32 v5, v6, v5                                   // 000000002DD4: 680A0B06
	v_lshlrev_b32_e32 v40, 2, v5                               // 000000002DD8: 24500A82
	s_mul_i32 s31, s24, 0x200                                  // 000000002DDC: 921FFF18 00000200
	v_add_u32_e32 v40, s31, v40                                // 000000002DE4: 6850501F
	s_mul_i32 s31, s24, 0x820                                  // 000000002DE8: 921FFF18 00000820
	s_add_u32 s45, 0x9180, s31                                 // 000000002DF0: 802D1FFF 00009180
	s_add_u32 s46, 0x2080, s45                                 // 000000002DF8: 802E2DFF 00002080
	s_add_u32 s47, 0x2080, s46                                 // 000000002E00: 802F2EFF 00002080
	s_mul_i32 s31, s30, s25                                    // 000000002E08: 921F191E
	s_mov_b32 s18, s31                                         // 000000002E0C: BE92001F
	s_cmp_lt_u32 s50, 1                                        // 000000002E10: BF0A8132
	s_cbranch_scc0 label_0166                                  // 000000002E14: BF840020
	v_and_b32_e64 v12, v0, 15                                  // 000000002E18: D113000C 00011F00
	v_mul_lo_u32 v12, v12, s30                                 // 000000002E20: D285000C 00003D0C
	v_lshrrev_b32_e32 v4, 4, v0                                // 000000002E28: 20080084
	v_mul_i32_i24_e32 v4, 16, v4                               // 000000002E2C: 0C080890
	v_add_u32_e32 v12, v4, v12                                 // 000000002E30: 68181904
	s_mul_i32 s31, s23, 0x60                                   // 000000002E34: 921FFF17 00000060
	s_mul_i32 s31, s31, s30                                    // 000000002E3C: 921F1E1F
	v_add_u32_e32 v12, s31, v12                                // 000000002E40: 6818181F
	s_mul_i32 s31, s22, 64                                     // 000000002E44: 921FC016
	s_mul_i32 s31, s31, 4                                      // 000000002E48: 921F841F
	v_add_u32_e32 v12, s31, v12                                // 000000002E4C: 6818181F
	s_mul_i32 s31, 64, s24                                     // 000000002E50: 921F18C0
	v_add_u32_e32 v12, s31, v12                                // 000000002E54: 6818181F
	s_mul_i32 s31, 16, s30                                     // 000000002E58: 921F1E90
	v_add_u32_e32 v13, s31, v12                                // 000000002E5C: 681A181F
	v_add_u32_e32 v14, s31, v13                                // 000000002E60: 681C1A1F
	v_add_u32_e32 v15, s31, v14                                // 000000002E64: 681E1C1F
	v_add_u32_e32 v16, s31, v15                                // 000000002E68: 68201E1F
	v_add_u32_e32 v17, s31, v16                                // 000000002E6C: 6822201F
	s_mul_i32 s31, s23, 0x60                                   // 000000002E70: 921FFF17 00000060
	s_add_i32 s31, s31, s24                                    // 000000002E78: 811F181F
	s_mul_i32 s31, s31, s30                                    // 000000002E7C: 921F1E1F
	s_mul_i32 s32, s22, 64                                     // 000000002E80: 9220C016
	s_mul_i32 s32, s32, 4                                      // 000000002E84: 92208420
	s_add_i32 s31, s31, s32                                    // 000000002E88: 811F201F
	v_lshlrev_b32_e32 v18, 2, v0                               // 000000002E8C: 24240082
	v_add_u32_e32 v18, s31, v18                                // 000000002E90: 6824241F
	s_branch label_018B                                        // 000000002E94: BF820025

0000000000002e98 <label_0166>:
	v_and_b32_e64 v12, v0, 15                                  // 000000002E98: D113000C 00011F00
	v_mul_lo_u32 v12, v12, s30                                 // 000000002EA0: D285000C 00003D0C
	v_lshrrev_b32_e32 v4, 4, v0                                // 000000002EA8: 20080084
	v_mul_i32_i24_e32 v4, 8, v4                                // 000000002EAC: 0C080888
	v_add_u32_e32 v12, v4, v12                                 // 000000002EB0: 68181904
	s_mul_i32 s31, s23, 0x60                                   // 000000002EB4: 921FFF17 00000060
	s_mul_i32 s31, s31, s30                                    // 000000002EBC: 921F1E1F
	v_add_u32_e32 v12, s31, v12                                // 000000002EC0: 6818181F
	s_mul_i32 s31, s22, 64                                     // 000000002EC4: 921FC016
	s_mul_i32 s31, s31, 2                                      // 000000002EC8: 921F821F
	v_add_u32_e32 v12, s31, v12                                // 000000002ECC: 6818181F
	s_mul_i32 s31, 32, s24                                     // 000000002ED0: 921F18A0
	v_add_u32_e32 v12, s31, v12                                // 000000002ED4: 6818181F
	s_mul_i32 s31, 16, s30                                     // 000000002ED8: 921F1E90
	v_add_u32_e32 v13, s31, v12                                // 000000002EDC: 681A181F
	v_add_u32_e32 v14, s31, v13                                // 000000002EE0: 681C1A1F
	v_add_u32_e32 v15, s31, v14                                // 000000002EE4: 681E1C1F
	v_add_u32_e32 v16, s31, v15                                // 000000002EE8: 68201E1F
	v_add_u32_e32 v17, s31, v16                                // 000000002EEC: 6822201F
	s_mul_i32 s31, s23, 0x60                                   // 000000002EF0: 921FFF17 00000060
	s_add_i32 s31, s31, s24                                    // 000000002EF8: 811F181F
	s_mul_i32 s31, s31, s30                                    // 000000002EFC: 921F1E1F
	s_mul_i32 s32, s22, 64                                     // 000000002F00: 9220C016
	s_mul_i32 s32, s32, 2                                      // 000000002F04: 92208220
	s_add_i32 s31, s31, s32                                    // 000000002F08: 811F201F
	v_lshrrev_b32_e32 v4, 5, v0                                // 000000002F0C: 20080085
	s_mul_i32 s32, s30, 4                                      // 000000002F10: 9220841E
	v_mul_lo_u32 v4, v4, s32                                   // 000000002F14: D2850004 00004104
	v_and_b32_e32 v5, 31, v0                                   // 000000002F1C: 260A009F
	v_lshlrev_b32_e32 v5, 2, v5                                // 000000002F20: 240A0A82
	v_add_u32_e32 v18, v4, v5                                  // 000000002F24: 68240B04
	v_add_u32_e32 v18, s31, v18                                // 000000002F28: 6824241F

0000000000002f2c <label_018B>:
	s_cmp_eq_u32 s57, 1                                        // 000000002F2C: BF068139
	s_cbranch_scc0 label_01C6                                  // 000000002F30: BF840039
	s_cmp_eq_i32 s49, 0                                        // 000000002F34: BF008031
	s_cbranch_scc0 label_01C6                                  // 000000002F38: BF840037
	s_mul_i32 s31, 2, s26                                      // 000000002F3C: 921F1A82
	s_mov_b32 s38, s31                                         // 000000002F40: BEA6001F
	v_lshrrev_b32_e32 v4, 4, v0                                // 000000002F44: 20080084
	v_mul_i32_i24_e32 v80, 8, v4                               // 000000002F48: 0CA00888
	s_mul_i32 s31, 32, s24                                     // 000000002F4C: 921F18A0
	v_add_u32_e32 v80, s31, v80                                // 000000002F50: 68A0A01F
	s_mul_i32 s32, s22, 64                                     // 000000002F54: 9220C016
	s_mul_i32 s32, s32, 2                                      // 000000002F58: 92208220
	v_add_u32_e32 v80, s32, v80                                // 000000002F5C: 68A0A020
	v_mov_b32_e32 v82, 0                                       // 000000002F60: 7EA40280
	v_mov_b32_e32 v83, 0                                       // 000000002F64: 7EA60280
	buffer_load_dwordx2 v[82:83], v80, s[36:39], 0 offen       // 000000002F68: E0541000 80095250
	s_waitcnt vmcnt(0)                                         // 000000002F70: BF8C0F70
	v_mov_b32_e32 v4, 0xffff0000                               // 000000002F74: 7E0802FF FFFF0000
	v_and_b32_e32 v4, v82, v4                                  // 000000002F7C: 26080952
	v_mov_b32_e32 v5, 0xffff                                   // 000000002F80: 7E0A02FF 0000FFFF
	v_and_b32_e32 v5, v82, v5                                  // 000000002F88: 260A0B52
	v_mov_b32_e32 v85, v4                                      // 000000002F8C: 7EAA0304
	v_lshlrev_b32_e32 v84, 16, v5                              // 000000002F90: 24A80A90
	v_mov_b32_e32 v4, 0xffff0000                               // 000000002F94: 7E0802FF FFFF0000
	v_and_b32_e32 v4, v83, v4                                  // 000000002F9C: 26080953
	v_mov_b32_e32 v5, 0xffff                                   // 000000002FA0: 7E0A02FF 0000FFFF
	v_and_b32_e32 v5, v83, v5                                  // 000000002FA8: 260A0B53
	v_mov_b32_e32 v87, v4                                      // 000000002FAC: 7EAE0304
	v_lshlrev_b32_e32 v86, 16, v5                              // 000000002FB0: 24AC0A90
	v_mov_b32_e32 v44, v84                                     // 000000002FB4: 7E580354
	v_mov_b32_e32 v45, v85                                     // 000000002FB8: 7E5A0355
	v_mov_b32_e32 v46, v86                                     // 000000002FBC: 7E5C0356
	v_mov_b32_e32 v47, v87                                     // 000000002FC0: 7E5E0357
	v_mov_b32_e32 v48, v84                                     // 000000002FC4: 7E600354
	v_mov_b32_e32 v49, v85                                     // 000000002FC8: 7E620355
	v_mov_b32_e32 v50, v86                                     // 000000002FCC: 7E640356
	v_mov_b32_e32 v51, v87                                     // 000000002FD0: 7E660357
	v_mov_b32_e32 v52, v84                                     // 000000002FD4: 7E680354
	v_mov_b32_e32 v53, v85                                     // 000000002FD8: 7E6A0355
	v_mov_b32_e32 v54, v86                                     // 000000002FDC: 7E6C0356
	v_mov_b32_e32 v55, v87                                     // 000000002FE0: 7E6E0357
	v_mov_b32_e32 v56, v84                                     // 000000002FE4: 7E700354
	v_mov_b32_e32 v57, v85                                     // 000000002FE8: 7E720355
	v_mov_b32_e32 v58, v86                                     // 000000002FEC: 7E740356
	v_mov_b32_e32 v59, v87                                     // 000000002FF0: 7E760357
	v_mov_b32_e32 v60, v84                                     // 000000002FF4: 7E780354
	v_mov_b32_e32 v61, v85                                     // 000000002FF8: 7E7A0355
	v_mov_b32_e32 v62, v86                                     // 000000002FFC: 7E7C0356
	v_mov_b32_e32 v63, v87                                     // 000000003000: 7E7E0357
	v_mov_b32_e32 v64, v84                                     // 000000003004: 7E800354
	v_mov_b32_e32 v65, v85                                     // 000000003008: 7E820355
	v_mov_b32_e32 v66, v86                                     // 00000000300C: 7E840356
	v_mov_b32_e32 v67, v87                                     // 000000003010: 7E860357
	s_branch label_01DE                                        // 000000003014: BF820018

0000000000003018 <label_01C6>:
	v_mov_b32_e32 v44, 0                                       // 000000003018: 7E580280
	v_mov_b32_e32 v45, 0                                       // 00000000301C: 7E5A0280
	v_mov_b32_e32 v46, 0                                       // 000000003020: 7E5C0280
	v_mov_b32_e32 v47, 0                                       // 000000003024: 7E5E0280
	v_mov_b32_e32 v48, 0                                       // 000000003028: 7E600280
	v_mov_b32_e32 v49, 0                                       // 00000000302C: 7E620280
	v_mov_b32_e32 v50, 0                                       // 000000003030: 7E640280
	v_mov_b32_e32 v51, 0                                       // 000000003034: 7E660280
	v_mov_b32_e32 v52, 0                                       // 000000003038: 7E680280
	v_mov_b32_e32 v53, 0                                       // 00000000303C: 7E6A0280
	v_mov_b32_e32 v54, 0                                       // 000000003040: 7E6C0280
	v_mov_b32_e32 v55, 0                                       // 000000003044: 7E6E0280
	v_mov_b32_e32 v56, 0                                       // 000000003048: 7E700280
	v_mov_b32_e32 v57, 0                                       // 00000000304C: 7E720280
	v_mov_b32_e32 v58, 0                                       // 000000003050: 7E740280
	v_mov_b32_e32 v59, 0                                       // 000000003054: 7E760280
	v_mov_b32_e32 v60, 0                                       // 000000003058: 7E780280
	v_mov_b32_e32 v61, 0                                       // 00000000305C: 7E7A0280
	v_mov_b32_e32 v62, 0                                       // 000000003060: 7E7C0280
	v_mov_b32_e32 v63, 0                                       // 000000003064: 7E7E0280
	v_mov_b32_e32 v64, 0                                       // 000000003068: 7E800280
	v_mov_b32_e32 v65, 0                                       // 00000000306C: 7E820280
	v_mov_b32_e32 v66, 0                                       // 000000003070: 7E840280
	v_mov_b32_e32 v67, 0                                       // 000000003074: 7E860280

0000000000003078 <label_01DE>:
	s_add_u32 m0, 0, s42                                       // 000000003078: 807C2A80
	buffer_load_dword v19, s[4:7], 0 offen lds                 // 00000000307C: E0511000 80010013
	s_add_u32 m0, 0x100, s42                                   // 000000003084: 807C2AFF 00000100
	buffer_load_dword v20, s[4:7], 0 offen lds                 // 00000000308C: E0511000 80010014
	s_add_u32 m0, 0x200, s42                                   // 000000003094: 807C2AFF 00000200
	buffer_load_dword v21, s[4:7], 0 offen lds                 // 00000000309C: E0511000 80010015
	s_add_u32 m0, 0x300, s42                                   // 0000000030A4: 807C2AFF 00000300
	buffer_load_dword v22, s[4:7], 0 offen lds                 // 0000000030AC: E0511000 80010016
	s_add_u32 m0, 0x400, s42                                   // 0000000030B4: 807C2AFF 00000400
	buffer_load_dword v23, s[4:7], 0 offen lds                 // 0000000030BC: E0511000 80010017
	s_add_u32 m0, 0x500, s42                                   // 0000000030C4: 807C2AFF 00000500
	buffer_load_dword v24, s[4:7], 0 offen lds                 // 0000000030CC: E0511000 80010018
	s_add_u32 m0, 0x600, s42                                   // 0000000030D4: 807C2AFF 00000600
	buffer_load_dword v25, s[4:7], 0 offen lds                 // 0000000030DC: E0511000 80010019
	s_add_u32 m0, 0x700, s42                                   // 0000000030E4: 807C2AFF 00000700
	buffer_load_dword v26, s[4:7], 0 offen lds                 // 0000000030EC: E0511000 8001001A
	s_add_u32 m0, 0x800, s42                                   // 0000000030F4: 807C2AFF 00000800
	buffer_load_dword v27, s[4:7], 0 offen lds                 // 0000000030FC: E0511000 8001001B
	s_add_u32 m0, 0x900, s42                                   // 000000003104: 807C2AFF 00000900
	buffer_load_dword v28, s[4:7], 0 offen lds                 // 00000000310C: E0511000 8001001C
	s_add_u32 m0, 0xa00, s42                                   // 000000003114: 807C2AFF 00000A00
	buffer_load_dword v29, s[4:7], 0 offen lds                 // 00000000311C: E0511000 8001001D
	s_add_u32 m0, 0xb00, s42                                   // 000000003124: 807C2AFF 00000B00
	buffer_load_dword v30, s[4:7], 0 offen lds                 // 00000000312C: E0511000 8001001E
	s_add_u32 s4, s40, s4                                      // 000000003134: 80040428
	s_addc_u32 s5, 0, s5                                       // 000000003138: 82050580
	s_sub_u32 s6, s6, s40                                      // 00000000313C: 80862806
	s_add_u32 m0, 0, s45                                       // 000000003140: 807C2D80
	buffer_load_dword v32, s[8:11], 0 offen lds                // 000000003144: E0511000 80020020
	s_add_u32 m0, 0x100, s45                                   // 00000000314C: 807C2DFF 00000100
	buffer_load_dword v33, s[8:11], 0 offen lds                // 000000003154: E0511000 80020021
	s_add_u32 m0, 0x200, s45                                   // 00000000315C: 807C2DFF 00000200
	buffer_load_dword v34, s[8:11], 0 offen lds                // 000000003164: E0511000 80020022
	s_add_u32 m0, 0x300, s45                                   // 00000000316C: 807C2DFF 00000300
	buffer_load_dword v35, s[8:11], 0 offen lds                // 000000003174: E0511000 80020023
	s_add_u32 m0, 0x400, s45                                   // 00000000317C: 807C2DFF 00000400
	buffer_load_dword v36, s[8:11], 0 offen lds                // 000000003184: E0511000 80020024
	s_add_u32 m0, 0x500, s45                                   // 00000000318C: 807C2DFF 00000500
	buffer_load_dword v37, s[8:11], 0 offen lds                // 000000003194: E0511000 80020025
	s_add_u32 m0, 0x600, s45                                   // 00000000319C: 807C2DFF 00000600
	buffer_load_dword v38, s[8:11], 0 offen lds                // 0000000031A4: E0511000 80020026
	s_add_u32 m0, 0x700, s45                                   // 0000000031AC: 807C2DFF 00000700
	buffer_load_dword v39, s[8:11], 0 offen lds                // 0000000031B4: E0511000 80020027
	s_add_u32 s8, s41, s8                                      // 0000000031BC: 80080829
	s_addc_u32 s9, 0, s9                                       // 0000000031C0: 82090980
	s_sub_u32 s10, s10, s41                                    // 0000000031C4: 808A290A
	s_add_u32 m0, 0, s43                                       // 0000000031C8: 807C2B80
	buffer_load_dword v19, s[4:7], 0 offen lds                 // 0000000031CC: E0511000 80010013
	s_add_u32 m0, 0x100, s43                                   // 0000000031D4: 807C2BFF 00000100
	buffer_load_dword v20, s[4:7], 0 offen lds                 // 0000000031DC: E0511000 80010014
	s_add_u32 m0, 0x200, s43                                   // 0000000031E4: 807C2BFF 00000200
	buffer_load_dword v21, s[4:7], 0 offen lds                 // 0000000031EC: E0511000 80010015
	s_add_u32 m0, 0x300, s43                                   // 0000000031F4: 807C2BFF 00000300
	buffer_load_dword v22, s[4:7], 0 offen lds                 // 0000000031FC: E0511000 80010016
	s_add_u32 m0, 0x400, s43                                   // 000000003204: 807C2BFF 00000400
	buffer_load_dword v23, s[4:7], 0 offen lds                 // 00000000320C: E0511000 80010017
	s_add_u32 m0, 0x500, s43                                   // 000000003214: 807C2BFF 00000500
	buffer_load_dword v24, s[4:7], 0 offen lds                 // 00000000321C: E0511000 80010018
	s_add_u32 m0, 0x600, s43                                   // 000000003224: 807C2BFF 00000600
	buffer_load_dword v25, s[4:7], 0 offen lds                 // 00000000322C: E0511000 80010019
	s_add_u32 m0, 0x700, s43                                   // 000000003234: 807C2BFF 00000700
	buffer_load_dword v26, s[4:7], 0 offen lds                 // 00000000323C: E0511000 8001001A
	s_add_u32 m0, 0x800, s43                                   // 000000003244: 807C2BFF 00000800
	buffer_load_dword v27, s[4:7], 0 offen lds                 // 00000000324C: E0511000 8001001B
	s_add_u32 m0, 0x900, s43                                   // 000000003254: 807C2BFF 00000900
	buffer_load_dword v28, s[4:7], 0 offen lds                 // 00000000325C: E0511000 8001001C
	s_add_u32 m0, 0xa00, s43                                   // 000000003264: 807C2BFF 00000A00
	buffer_load_dword v29, s[4:7], 0 offen lds                 // 00000000326C: E0511000 8001001D
	s_add_u32 m0, 0xb00, s43                                   // 000000003274: 807C2BFF 00000B00
	buffer_load_dword v30, s[4:7], 0 offen lds                 // 00000000327C: E0511000 8001001E
	s_add_u32 s4, s40, s4                                      // 000000003284: 80040428
	s_addc_u32 s5, 0, s5                                       // 000000003288: 82050580
	s_sub_u32 s6, s6, s40                                      // 00000000328C: 80862806
	s_add_u32 m0, 0, s46                                       // 000000003290: 807C2E80
	buffer_load_dword v32, s[8:11], 0 offen lds                // 000000003294: E0511000 80020020
	s_add_u32 m0, 0x100, s46                                   // 00000000329C: 807C2EFF 00000100
	buffer_load_dword v33, s[8:11], 0 offen lds                // 0000000032A4: E0511000 80020021
	s_add_u32 m0, 0x200, s46                                   // 0000000032AC: 807C2EFF 00000200
	buffer_load_dword v34, s[8:11], 0 offen lds                // 0000000032B4: E0511000 80020022
	s_add_u32 m0, 0x300, s46                                   // 0000000032BC: 807C2EFF 00000300
	buffer_load_dword v35, s[8:11], 0 offen lds                // 0000000032C4: E0511000 80020023
	s_add_u32 m0, 0x400, s46                                   // 0000000032CC: 807C2EFF 00000400
	buffer_load_dword v36, s[8:11], 0 offen lds                // 0000000032D4: E0511000 80020024
	s_add_u32 m0, 0x500, s46                                   // 0000000032DC: 807C2EFF 00000500
	buffer_load_dword v37, s[8:11], 0 offen lds                // 0000000032E4: E0511000 80020025
	s_add_u32 m0, 0x600, s46                                   // 0000000032EC: 807C2EFF 00000600
	buffer_load_dword v38, s[8:11], 0 offen lds                // 0000000032F4: E0511000 80020026
	s_add_u32 m0, 0x700, s46                                   // 0000000032FC: 807C2EFF 00000700
	buffer_load_dword v39, s[8:11], 0 offen lds                // 000000003304: E0511000 80020027
	s_add_u32 s8, s41, s8                                      // 00000000330C: 80080829
	s_addc_u32 s9, 0, s9                                       // 000000003310: 82090980
	s_sub_u32 s10, s10, s41                                    // 000000003314: 808A290A
	s_add_u32 m0, 0, s44                                       // 000000003318: 807C2C80
	buffer_load_dword v19, s[4:7], 0 offen lds                 // 00000000331C: E0511000 80010013
	s_add_u32 m0, 0x100, s44                                   // 000000003324: 807C2CFF 00000100
	buffer_load_dword v20, s[4:7], 0 offen lds                 // 00000000332C: E0511000 80010014
	s_add_u32 m0, 0x200, s44                                   // 000000003334: 807C2CFF 00000200
	buffer_load_dword v21, s[4:7], 0 offen lds                 // 00000000333C: E0511000 80010015
	s_add_u32 m0, 0x300, s44                                   // 000000003344: 807C2CFF 00000300
	buffer_load_dword v22, s[4:7], 0 offen lds                 // 00000000334C: E0511000 80010016
	s_add_u32 m0, 0x400, s44                                   // 000000003354: 807C2CFF 00000400
	buffer_load_dword v23, s[4:7], 0 offen lds                 // 00000000335C: E0511000 80010017
	s_add_u32 m0, 0x500, s44                                   // 000000003364: 807C2CFF 00000500
	buffer_load_dword v24, s[4:7], 0 offen lds                 // 00000000336C: E0511000 80010018
	s_add_u32 m0, 0x600, s44                                   // 000000003374: 807C2CFF 00000600
	buffer_load_dword v25, s[4:7], 0 offen lds                 // 00000000337C: E0511000 80010019
	s_add_u32 m0, 0x700, s44                                   // 000000003384: 807C2CFF 00000700
	buffer_load_dword v26, s[4:7], 0 offen lds                 // 00000000338C: E0511000 8001001A
	s_add_u32 m0, 0x800, s44                                   // 000000003394: 807C2CFF 00000800
	buffer_load_dword v27, s[4:7], 0 offen lds                 // 00000000339C: E0511000 8001001B
	s_add_u32 m0, 0x900, s44                                   // 0000000033A4: 807C2CFF 00000900
	buffer_load_dword v28, s[4:7], 0 offen lds                 // 0000000033AC: E0511000 8001001C
	s_add_u32 m0, 0xa00, s44                                   // 0000000033B4: 807C2CFF 00000A00
	buffer_load_dword v29, s[4:7], 0 offen lds                 // 0000000033BC: E0511000 8001001D
	s_add_u32 m0, 0xb00, s44                                   // 0000000033C4: 807C2CFF 00000B00
	buffer_load_dword v30, s[4:7], 0 offen lds                 // 0000000033CC: E0511000 8001001E
	s_add_u32 s4, s40, s4                                      // 0000000033D4: 80040428
	s_addc_u32 s5, 0, s5                                       // 0000000033D8: 82050580
	s_sub_u32 s6, s6, s40                                      // 0000000033DC: 80862806
	s_add_u32 m0, 0, s47                                       // 0000000033E0: 807C2F80
	buffer_load_dword v32, s[8:11], 0 offen lds                // 0000000033E4: E0511000 80020020
	s_add_u32 m0, 0x100, s47                                   // 0000000033EC: 807C2FFF 00000100
	buffer_load_dword v33, s[8:11], 0 offen lds                // 0000000033F4: E0511000 80020021
	s_add_u32 m0, 0x200, s47                                   // 0000000033FC: 807C2FFF 00000200
	buffer_load_dword v34, s[8:11], 0 offen lds                // 000000003404: E0511000 80020022
	s_add_u32 m0, 0x300, s47                                   // 00000000340C: 807C2FFF 00000300
	buffer_load_dword v35, s[8:11], 0 offen lds                // 000000003414: E0511000 80020023
	s_add_u32 m0, 0x400, s47                                   // 00000000341C: 807C2FFF 00000400
	buffer_load_dword v36, s[8:11], 0 offen lds                // 000000003424: E0511000 80020024
	s_add_u32 m0, 0x500, s47                                   // 00000000342C: 807C2FFF 00000500
	buffer_load_dword v37, s[8:11], 0 offen lds                // 000000003434: E0511000 80020025
	s_add_u32 m0, 0x600, s47                                   // 00000000343C: 807C2FFF 00000600
	buffer_load_dword v38, s[8:11], 0 offen lds                // 000000003444: E0511000 80020026
	s_add_u32 m0, 0x700, s47                                   // 00000000344C: 807C2FFF 00000700
	buffer_load_dword v39, s[8:11], 0 offen lds                // 000000003454: E0511000 80020027
	s_add_u32 s8, s41, s8                                      // 00000000345C: 80080829
	s_addc_u32 s9, 0, s9                                       // 000000003460: 82090980
	s_sub_u32 s10, s10, s41                                    // 000000003464: 808A290A
	s_mov_b32 s34, s27                                         // 000000003468: BEA2001B
	s_mov_b32 s33, 0                                           // 00000000346C: BEA10080
	s_mul_i32 s31, s23, 0x60                                   // 000000003470: 921FFF17 00000060
	s_sub_i32 s51, s25, s31                                    // 000000003478: 81B31F19
	s_waitcnt vmcnt(40)                                        // 00000000347C: BF8C8F78
	s_barrier                                                  // 000000003480: BF8A0000
	ds_read_b128 a[0:3], v31                                   // 000000003484: DBFE0000 0000001F
	ds_read_b128 a[4:7], v31 offset:64                         // 00000000348C: DBFE0040 0400001F
	ds_read_b128 a[8:11], v31 offset:512                       // 000000003494: DBFE0200 0800001F
	ds_read_b128 a[12:15], v31 offset:576                      // 00000000349C: DBFE0240 0C00001F
	ds_read_b128 a[16:19], v31 offset:1024                     // 0000000034A4: DBFE0400 1000001F
	ds_read_b128 a[20:23], v31 offset:1088                     // 0000000034AC: DBFE0440 1400001F
	ds_read_b128 a[24:27], v31 offset:1536                     // 0000000034B4: DBFE0600 1800001F
	ds_read_b128 a[28:31], v31 offset:1600                     // 0000000034BC: DBFE0640 1C00001F
	ds_read_b128 a[32:35], v31 offset:2048                     // 0000000034C4: DBFE0800 2000001F
	ds_read_b128 a[36:39], v31 offset:2112                     // 0000000034CC: DBFE0840 2400001F
	ds_read_b128 a[40:43], v31 offset:2560                     // 0000000034D4: DBFE0A00 2800001F
	ds_read_b128 a[44:47], v31 offset:2624                     // 0000000034DC: DBFE0A40 2C00001F
	ds_read_b128 a[96:99], v40 offset:37248                    // 0000000034E4: DBFE9180 60000028
	ds_read_b128 a[100:103], v40 offset:37312                  // 0000000034EC: DBFE91C0 64000028
	s_cmp_lt_i32 s24, 2                                        // 0000000034F4: BF048218
	s_cbranch_scc0 label_0702                                  // 0000000034F8: BF840403

00000000000034fc <label_02FF>:
	s_waitcnt vmcnt(20) lgkmcnt(0)                             // 0000000034FC: BF8C4074
	s_barrier                                                  // 000000003500: BF8A0000
	v_mfma_f32_16x16x16_bf16 v[44:47], a[96:97], a[0:1], v[44:47]// 000000003504: D3E1002C 1CB20160
	s_add_u32 m0, 0, s42                                       // 00000000350C: 807C2A80
	buffer_load_dword v19, s[4:7], 0 offen lds                 // 000000003510: E0511000 80010013
	v_mfma_f32_16x16x16_bf16 v[44:47], a[98:99], a[2:3], v[44:47]// 000000003518: D3E1002C 1CB20562
	s_add_u32 m0, 0x100, s42                                   // 000000003520: 807C2AFF 00000100
	buffer_load_dword v20, s[4:7], 0 offen lds                 // 000000003528: E0511000 80010014
	ds_read_b128 a[48:51], v31 offset:12416                    // 000000003530: DBFE3080 3000001F
	ds_read_b128 a[52:55], v31 offset:12480                    // 000000003538: DBFE30C0 3400001F
	v_mfma_f32_16x16x16_bf16 v[44:47], a[100:101], a[4:5], v[44:47]// 000000003540: D3E1002C 1CB20964
	s_add_u32 m0, 0x200, s42                                   // 000000003548: 807C2AFF 00000200
	buffer_load_dword v21, s[4:7], 0 offen lds                 // 000000003550: E0511000 80010015
	v_mfma_f32_16x16x16_bf16 v[44:47], a[102:103], a[6:7], v[44:47]// 000000003558: D3E1002C 1CB20D66
	s_add_u32 m0, 0x300, s42                                   // 000000003560: 807C2AFF 00000300
	buffer_load_dword v22, s[4:7], 0 offen lds                 // 000000003568: E0511000 80010016
	ds_read_b128 a[56:59], v31 offset:12928                    // 000000003570: DBFE3280 3800001F
	ds_read_b128 a[60:63], v31 offset:12992                    // 000000003578: DBFE32C0 3C00001F
	v_mfma_f32_16x16x16_bf16 v[48:51], a[96:97], a[8:9], v[48:51]// 000000003580: D3E10030 1CC21160
	s_add_u32 m0, 0x400, s42                                   // 000000003588: 807C2AFF 00000400
	buffer_load_dword v23, s[4:7], 0 offen lds                 // 000000003590: E0511000 80010017
	v_mfma_f32_16x16x16_bf16 v[48:51], a[98:99], a[10:11], v[48:51]// 000000003598: D3E10030 1CC21562
	s_add_u32 m0, 0x500, s42                                   // 0000000035A0: 807C2AFF 00000500
	buffer_load_dword v24, s[4:7], 0 offen lds                 // 0000000035A8: E0511000 80010018
	ds_read_b128 a[64:67], v31 offset:13440                    // 0000000035B0: DBFE3480 4000001F
	ds_read_b128 a[68:71], v31 offset:13504                    // 0000000035B8: DBFE34C0 4400001F
	v_mfma_f32_16x16x16_bf16 v[48:51], a[100:101], a[12:13], v[48:51]// 0000000035C0: D3E10030 1CC21964
	s_add_u32 m0, 0x600, s42                                   // 0000000035C8: 807C2AFF 00000600
	buffer_load_dword v25, s[4:7], 0 offen lds                 // 0000000035D0: E0511000 80010019
	v_mfma_f32_16x16x16_bf16 v[48:51], a[102:103], a[14:15], v[48:51]// 0000000035D8: D3E10030 1CC21D66
	s_add_u32 m0, 0x700, s42                                   // 0000000035E0: 807C2AFF 00000700
	buffer_load_dword v26, s[4:7], 0 offen lds                 // 0000000035E8: E0511000 8001001A
	ds_read_b128 a[72:75], v31 offset:13952                    // 0000000035F0: DBFE3680 4800001F
	ds_read_b128 a[76:79], v31 offset:14016                    // 0000000035F8: DBFE36C0 4C00001F
	v_mfma_f32_16x16x16_bf16 v[52:55], a[96:97], a[16:17], v[52:55]// 000000003600: D3E10034 1CD22160
	s_add_u32 m0, 0x800, s42                                   // 000000003608: 807C2AFF 00000800
	buffer_load_dword v27, s[4:7], 0 offen lds                 // 000000003610: E0511000 8001001B
	v_mfma_f32_16x16x16_bf16 v[52:55], a[98:99], a[18:19], v[52:55]// 000000003618: D3E10034 1CD22562
	s_add_u32 m0, 0x900, s42                                   // 000000003620: 807C2AFF 00000900
	buffer_load_dword v28, s[4:7], 0 offen lds                 // 000000003628: E0511000 8001001C
	ds_read_b128 a[80:83], v31 offset:14464                    // 000000003630: DBFE3880 5000001F
	ds_read_b128 a[84:87], v31 offset:14528                    // 000000003638: DBFE38C0 5400001F
	v_mfma_f32_16x16x16_bf16 v[52:55], a[100:101], a[20:21], v[52:55]// 000000003640: D3E10034 1CD22964
	s_add_u32 m0, 0xa00, s42                                   // 000000003648: 807C2AFF 00000A00
	buffer_load_dword v29, s[4:7], 0 offen lds                 // 000000003650: E0511000 8001001D
	v_mfma_f32_16x16x16_bf16 v[52:55], a[102:103], a[22:23], v[52:55]// 000000003658: D3E10034 1CD22D66
	s_add_u32 m0, 0xb00, s42                                   // 000000003660: 807C2AFF 00000B00
	buffer_load_dword v30, s[4:7], 0 offen lds                 // 000000003668: E0511000 8001001E
	ds_read_b128 a[88:91], v31 offset:14976                    // 000000003670: DBFE3A80 5800001F
	ds_read_b128 a[92:95], v31 offset:15040                    // 000000003678: DBFE3AC0 5C00001F
	v_mfma_f32_16x16x16_bf16 v[56:59], a[96:97], a[24:25], v[56:59]// 000000003680: D3E10038 1CE23160
	s_add_u32 s31, 0x100, s33                                  // 000000003688: 801F21FF 00000100
	s_cmp_lt_u32 s31, s34                                      // 000000003690: BF0A221F
	s_cselect_b32 s40, s40, 0                                  // 000000003694: 85288028
	s_add_u32 m0, 0, s45                                       // 000000003698: 807C2D80
	buffer_load_dword v32, s[8:11], 0 offen lds                // 00000000369C: E0511000 80020020
	v_mfma_f32_16x16x16_bf16 v[56:59], a[98:99], a[26:27], v[56:59]// 0000000036A4: D3E10038 1CE23562
	s_add_u32 m0, 0x100, s45                                   // 0000000036AC: 807C2DFF 00000100
	buffer_load_dword v33, s[8:11], 0 offen lds                // 0000000036B4: E0511000 80020021
	s_add_u32 s4, s40, s4                                      // 0000000036BC: 80040428
	s_addc_u32 s5, 0, s5                                       // 0000000036C0: 82050580
	ds_read_b128 a[104:107], v40 offset:45568                  // 0000000036C4: DBFEB200 68000028
	ds_read_b128 a[108:111], v40 offset:45632                  // 0000000036CC: DBFEB240 6C000028
	v_mfma_f32_16x16x16_bf16 v[56:59], a[100:101], a[28:29], v[56:59]// 0000000036D4: D3E10038 1CE23964
	s_add_u32 m0, 0x200, s45                                   // 0000000036DC: 807C2DFF 00000200
	buffer_load_dword v34, s[8:11], 0 offen lds                // 0000000036E4: E0511000 80020022
	v_mfma_f32_16x16x16_bf16 v[56:59], a[102:103], a[30:31], v[56:59]// 0000000036EC: D3E10038 1CE23D66
	s_add_u32 m0, 0x300, s45                                   // 0000000036F4: 807C2DFF 00000300
	buffer_load_dword v35, s[8:11], 0 offen lds                // 0000000036FC: E0511000 80020023
	v_mfma_f32_16x16x16_bf16 v[60:63], a[96:97], a[32:33], v[60:63]// 000000003704: D3E1003C 1CF24160
	s_add_u32 m0, 0x400, s45                                   // 00000000370C: 807C2DFF 00000400
	buffer_load_dword v36, s[8:11], 0 offen lds                // 000000003714: E0511000 80020024
	v_mfma_f32_16x16x16_bf16 v[60:63], a[98:99], a[34:35], v[60:63]// 00000000371C: D3E1003C 1CF24562
	s_add_u32 m0, 0x500, s45                                   // 000000003724: 807C2DFF 00000500
	buffer_load_dword v37, s[8:11], 0 offen lds                // 00000000372C: E0511000 80020025
	v_mfma_f32_16x16x16_bf16 v[60:63], a[100:101], a[36:37], v[60:63]// 000000003734: D3E1003C 1CF24964
	s_add_u32 m0, 0x600, s45                                   // 00000000373C: 807C2DFF 00000600
	buffer_load_dword v38, s[8:11], 0 offen lds                // 000000003744: E0511000 80020026
	v_mfma_f32_16x16x16_bf16 v[60:63], a[102:103], a[38:39], v[60:63]// 00000000374C: D3E1003C 1CF24D66
	s_add_u32 m0, 0x700, s45                                   // 000000003754: 807C2DFF 00000700
	buffer_load_dword v39, s[8:11], 0 offen lds                // 00000000375C: E0511000 80020027
	v_mfma_f32_16x16x16_bf16 v[64:67], a[96:97], a[40:41], v[64:67]// 000000003764: D3E10040 1D025160
	s_add_u32 s31, 0x100, s33                                  // 00000000376C: 801F21FF 00000100
	s_cmp_lt_u32 s31, s34                                      // 000000003774: BF0A221F
	s_cselect_b32 s41, s41, 0                                  // 000000003778: 85298029
	v_mfma_f32_16x16x16_bf16 v[64:67], a[98:99], a[42:43], v[64:67]// 00000000377C: D3E10040 1D025562
	s_add_u32 s8, s41, s8                                      // 000000003784: 80080829
	s_addc_u32 s9, 0, s9                                       // 000000003788: 82090980
	v_mfma_f32_16x16x16_bf16 v[64:67], a[100:101], a[44:45], v[64:67]// 00000000378C: D3E10040 1D025964
	v_mfma_f32_16x16x16_bf16 v[64:67], a[102:103], a[46:47], v[64:67]// 000000003794: D3E10040 1D025D66
	s_addk_i32 s33, 0x40                                       // 00000000379C: B7210040
	s_cmp_lt_i32 s33, s34                                      // 0000000037A0: BF042221
	s_cbranch_scc0 label_0B05                                  // 0000000037A4: BF84075B
	s_waitcnt vmcnt(20) lgkmcnt(0)                             // 0000000037A8: BF8C4074
	s_barrier                                                  // 0000000037AC: BF8A0000
	v_mfma_f32_16x16x16_bf16 v[44:47], a[104:105], a[48:49], v[44:47]// 0000000037B0: D3E1002C 1CB26168
	s_add_u32 m0, 0, s43                                       // 0000000037B8: 807C2B80
	buffer_load_dword v19, s[4:7], 0 offen lds                 // 0000000037BC: E0511000 80010013
	v_mfma_f32_16x16x16_bf16 v[44:47], a[106:107], a[50:51], v[44:47]// 0000000037C4: D3E1002C 1CB2656A
	s_add_u32 m0, 0x100, s43                                   // 0000000037CC: 807C2BFF 00000100
	buffer_load_dword v20, s[4:7], 0 offen lds                 // 0000000037D4: E0511000 80010014
	ds_read_b128 a[0:3], v31 offset:24832                      // 0000000037DC: DBFE6100 0000001F
	ds_read_b128 a[4:7], v31 offset:24896                      // 0000000037E4: DBFE6140 0400001F
	v_mfma_f32_16x16x16_bf16 v[44:47], a[108:109], a[52:53], v[44:47]// 0000000037EC: D3E1002C 1CB2696C
	s_add_u32 m0, 0x200, s43                                   // 0000000037F4: 807C2BFF 00000200
	buffer_load_dword v21, s[4:7], 0 offen lds                 // 0000000037FC: E0511000 80010015
	v_mfma_f32_16x16x16_bf16 v[44:47], a[110:111], a[54:55], v[44:47]// 000000003804: D3E1002C 1CB26D6E
	s_add_u32 m0, 0x300, s43                                   // 00000000380C: 807C2BFF 00000300
	buffer_load_dword v22, s[4:7], 0 offen lds                 // 000000003814: E0511000 80010016
	ds_read_b128 a[8:11], v31 offset:25344                     // 00000000381C: DBFE6300 0800001F
	ds_read_b128 a[12:15], v31 offset:25408                    // 000000003824: DBFE6340 0C00001F
	v_mfma_f32_16x16x16_bf16 v[48:51], a[104:105], a[56:57], v[48:51]// 00000000382C: D3E10030 1CC27168
	s_add_u32 m0, 0x400, s43                                   // 000000003834: 807C2BFF 00000400
	buffer_load_dword v23, s[4:7], 0 offen lds                 // 00000000383C: E0511000 80010017
	v_mfma_f32_16x16x16_bf16 v[48:51], a[106:107], a[58:59], v[48:51]// 000000003844: D3E10030 1CC2756A
	s_add_u32 m0, 0x500, s43                                   // 00000000384C: 807C2BFF 00000500
	buffer_load_dword v24, s[4:7], 0 offen lds                 // 000000003854: E0511000 80010018
	ds_read_b128 a[16:19], v31 offset:25856                    // 00000000385C: DBFE6500 1000001F
	ds_read_b128 a[20:23], v31 offset:25920                    // 000000003864: DBFE6540 1400001F
	v_mfma_f32_16x16x16_bf16 v[48:51], a[108:109], a[60:61], v[48:51]// 00000000386C: D3E10030 1CC2796C
	s_add_u32 m0, 0x600, s43                                   // 000000003874: 807C2BFF 00000600
	buffer_load_dword v25, s[4:7], 0 offen lds                 // 00000000387C: E0511000 80010019
	v_mfma_f32_16x16x16_bf16 v[48:51], a[110:111], a[62:63], v[48:51]// 000000003884: D3E10030 1CC27D6E
	s_add_u32 m0, 0x700, s43                                   // 00000000388C: 807C2BFF 00000700
	buffer_load_dword v26, s[4:7], 0 offen lds                 // 000000003894: E0511000 8001001A
	ds_read_b128 a[24:27], v31 offset:26368                    // 00000000389C: DBFE6700 1800001F
	ds_read_b128 a[28:31], v31 offset:26432                    // 0000000038A4: DBFE6740 1C00001F
	v_mfma_f32_16x16x16_bf16 v[52:55], a[104:105], a[64:65], v[52:55]// 0000000038AC: D3E10034 1CD28168
	s_add_u32 m0, 0x800, s43                                   // 0000000038B4: 807C2BFF 00000800
	buffer_load_dword v27, s[4:7], 0 offen lds                 // 0000000038BC: E0511000 8001001B
	v_mfma_f32_16x16x16_bf16 v[52:55], a[106:107], a[66:67], v[52:55]// 0000000038C4: D3E10034 1CD2856A
	s_add_u32 m0, 0x900, s43                                   // 0000000038CC: 807C2BFF 00000900
	buffer_load_dword v28, s[4:7], 0 offen lds                 // 0000000038D4: E0511000 8001001C
	ds_read_b128 a[32:35], v31 offset:26880                    // 0000000038DC: DBFE6900 2000001F
	ds_read_b128 a[36:39], v31 offset:26944                    // 0000000038E4: DBFE6940 2400001F
	v_mfma_f32_16x16x16_bf16 v[52:55], a[108:109], a[68:69], v[52:55]// 0000000038EC: D3E10034 1CD2896C
	s_add_u32 m0, 0xa00, s43                                   // 0000000038F4: 807C2BFF 00000A00
	buffer_load_dword v29, s[4:7], 0 offen lds                 // 0000000038FC: E0511000 8001001D
	v_mfma_f32_16x16x16_bf16 v[52:55], a[110:111], a[70:71], v[52:55]// 000000003904: D3E10034 1CD28D6E
	s_add_u32 m0, 0xb00, s43                                   // 00000000390C: 807C2BFF 00000B00
	buffer_load_dword v30, s[4:7], 0 offen lds                 // 000000003914: E0511000 8001001E
	ds_read_b128 a[40:43], v31 offset:27392                    // 00000000391C: DBFE6B00 2800001F
	ds_read_b128 a[44:47], v31 offset:27456                    // 000000003924: DBFE6B40 2C00001F
	v_mfma_f32_16x16x16_bf16 v[56:59], a[104:105], a[72:73], v[56:59]// 00000000392C: D3E10038 1CE29168
	s_add_u32 s31, 0x100, s33                                  // 000000003934: 801F21FF 00000100
	s_cmp_lt_u32 s31, s34                                      // 00000000393C: BF0A221F
	s_cselect_b32 s40, s40, 0                                  // 000000003940: 85288028
	s_add_u32 m0, 0, s46                                       // 000000003944: 807C2E80
	buffer_load_dword v32, s[8:11], 0 offen lds                // 000000003948: E0511000 80020020
	v_mfma_f32_16x16x16_bf16 v[56:59], a[106:107], a[74:75], v[56:59]// 000000003950: D3E10038 1CE2956A
	s_add_u32 m0, 0x100, s46                                   // 000000003958: 807C2EFF 00000100
	buffer_load_dword v33, s[8:11], 0 offen lds                // 000000003960: E0511000 80020021
	s_add_u32 s4, s40, s4                                      // 000000003968: 80040428
	s_addc_u32 s5, 0, s5                                       // 00000000396C: 82050580
	ds_read_b128 a[96:99], v40 offset:53888                    // 000000003970: DBFED280 60000028
	ds_read_b128 a[100:103], v40 offset:53952                  // 000000003978: DBFED2C0 64000028
	v_mfma_f32_16x16x16_bf16 v[56:59], a[108:109], a[76:77], v[56:59]// 000000003980: D3E10038 1CE2996C
	s_add_u32 m0, 0x200, s46                                   // 000000003988: 807C2EFF 00000200
	buffer_load_dword v34, s[8:11], 0 offen lds                // 000000003990: E0511000 80020022
	v_mfma_f32_16x16x16_bf16 v[56:59], a[110:111], a[78:79], v[56:59]// 000000003998: D3E10038 1CE29D6E
	s_add_u32 m0, 0x300, s46                                   // 0000000039A0: 807C2EFF 00000300
	buffer_load_dword v35, s[8:11], 0 offen lds                // 0000000039A8: E0511000 80020023
	v_mfma_f32_16x16x16_bf16 v[60:63], a[104:105], a[80:81], v[60:63]// 0000000039B0: D3E1003C 1CF2A168
	s_add_u32 m0, 0x400, s46                                   // 0000000039B8: 807C2EFF 00000400
	buffer_load_dword v36, s[8:11], 0 offen lds                // 0000000039C0: E0511000 80020024
	v_mfma_f32_16x16x16_bf16 v[60:63], a[106:107], a[82:83], v[60:63]// 0000000039C8: D3E1003C 1CF2A56A
	s_add_u32 m0, 0x500, s46                                   // 0000000039D0: 807C2EFF 00000500
	buffer_load_dword v37, s[8:11], 0 offen lds                // 0000000039D8: E0511000 80020025
	v_mfma_f32_16x16x16_bf16 v[60:63], a[108:109], a[84:85], v[60:63]// 0000000039E0: D3E1003C 1CF2A96C
	s_add_u32 m0, 0x600, s46                                   // 0000000039E8: 807C2EFF 00000600
	buffer_load_dword v38, s[8:11], 0 offen lds                // 0000000039F0: E0511000 80020026
	v_mfma_f32_16x16x16_bf16 v[60:63], a[110:111], a[86:87], v[60:63]// 0000000039F8: D3E1003C 1CF2AD6E
	s_add_u32 m0, 0x700, s46                                   // 000000003A00: 807C2EFF 00000700
	buffer_load_dword v39, s[8:11], 0 offen lds                // 000000003A08: E0511000 80020027
	v_mfma_f32_16x16x16_bf16 v[64:67], a[104:105], a[88:89], v[64:67]// 000000003A10: D3E10040 1D02B168
	s_add_u32 s31, 0x100, s33                                  // 000000003A18: 801F21FF 00000100
	s_cmp_lt_u32 s31, s34                                      // 000000003A20: BF0A221F
	s_cselect_b32 s41, s41, 0                                  // 000000003A24: 85298029
	v_mfma_f32_16x16x16_bf16 v[64:67], a[106:107], a[90:91], v[64:67]// 000000003A28: D3E10040 1D02B56A
	s_add_u32 s8, s41, s8                                      // 000000003A30: 80080829
	s_addc_u32 s9, 0, s9                                       // 000000003A34: 82090980
	v_mfma_f32_16x16x16_bf16 v[64:67], a[108:109], a[92:93], v[64:67]// 000000003A38: D3E10040 1D02B96C
	v_mfma_f32_16x16x16_bf16 v[64:67], a[110:111], a[94:95], v[64:67]// 000000003A40: D3E10040 1D02BD6E
	s_addk_i32 s33, 0x40                                       // 000000003A48: B7210040
	s_cmp_lt_i32 s33, s34                                      // 000000003A4C: BF042221
	s_cbranch_scc0 label_0B05                                  // 000000003A50: BF8406B0
	s_waitcnt vmcnt(20) lgkmcnt(0)                             // 000000003A54: BF8C4074
	s_barrier                                                  // 000000003A58: BF8A0000
	v_mfma_f32_16x16x16_bf16 v[44:47], a[96:97], a[0:1], v[44:47]// 000000003A5C: D3E1002C 1CB20160
	s_add_u32 m0, 0, s44                                       // 000000003A64: 807C2C80
	buffer_load_dword v19, s[4:7], 0 offen lds                 // 000000003A68: E0511000 80010013
	v_mfma_f32_16x16x16_bf16 v[44:47], a[98:99], a[2:3], v[44:47]// 000000003A70: D3E1002C 1CB20562
	s_add_u32 m0, 0x100, s44                                   // 000000003A78: 807C2CFF 00000100
	buffer_load_dword v20, s[4:7], 0 offen lds                 // 000000003A80: E0511000 80010014
	ds_read_b128 a[48:51], v31                                 // 000000003A88: DBFE0000 3000001F
	ds_read_b128 a[52:55], v31 offset:64                       // 000000003A90: DBFE0040 3400001F
	v_mfma_f32_16x16x16_bf16 v[44:47], a[100:101], a[4:5], v[44:47]// 000000003A98: D3E1002C 1CB20964
	s_add_u32 m0, 0x200, s44                                   // 000000003AA0: 807C2CFF 00000200
	buffer_load_dword v21, s[4:7], 0 offen lds                 // 000000003AA8: E0511000 80010015
	v_mfma_f32_16x16x16_bf16 v[44:47], a[102:103], a[6:7], v[44:47]// 000000003AB0: D3E1002C 1CB20D66
	s_add_u32 m0, 0x300, s44                                   // 000000003AB8: 807C2CFF 00000300
	buffer_load_dword v22, s[4:7], 0 offen lds                 // 000000003AC0: E0511000 80010016
	ds_read_b128 a[56:59], v31 offset:512                      // 000000003AC8: DBFE0200 3800001F
	ds_read_b128 a[60:63], v31 offset:576                      // 000000003AD0: DBFE0240 3C00001F
	v_mfma_f32_16x16x16_bf16 v[48:51], a[96:97], a[8:9], v[48:51]// 000000003AD8: D3E10030 1CC21160
	s_add_u32 m0, 0x400, s44                                   // 000000003AE0: 807C2CFF 00000400
	buffer_load_dword v23, s[4:7], 0 offen lds                 // 000000003AE8: E0511000 80010017
	v_mfma_f32_16x16x16_bf16 v[48:51], a[98:99], a[10:11], v[48:51]// 000000003AF0: D3E10030 1CC21562
	s_add_u32 m0, 0x500, s44                                   // 000000003AF8: 807C2CFF 00000500
	buffer_load_dword v24, s[4:7], 0 offen lds                 // 000000003B00: E0511000 80010018
	ds_read_b128 a[64:67], v31 offset:1024                     // 000000003B08: DBFE0400 4000001F
	ds_read_b128 a[68:71], v31 offset:1088                     // 000000003B10: DBFE0440 4400001F
	v_mfma_f32_16x16x16_bf16 v[48:51], a[100:101], a[12:13], v[48:51]// 000000003B18: D3E10030 1CC21964
	s_add_u32 m0, 0x600, s44                                   // 000000003B20: 807C2CFF 00000600
	buffer_load_dword v25, s[4:7], 0 offen lds                 // 000000003B28: E0511000 80010019
	v_mfma_f32_16x16x16_bf16 v[48:51], a[102:103], a[14:15], v[48:51]// 000000003B30: D3E10030 1CC21D66
	s_add_u32 m0, 0x700, s44                                   // 000000003B38: 807C2CFF 00000700
	buffer_load_dword v26, s[4:7], 0 offen lds                 // 000000003B40: E0511000 8001001A
	ds_read_b128 a[72:75], v31 offset:1536                     // 000000003B48: DBFE0600 4800001F
	ds_read_b128 a[76:79], v31 offset:1600                     // 000000003B50: DBFE0640 4C00001F
	v_mfma_f32_16x16x16_bf16 v[52:55], a[96:97], a[16:17], v[52:55]// 000000003B58: D3E10034 1CD22160
	s_add_u32 m0, 0x800, s44                                   // 000000003B60: 807C2CFF 00000800
	buffer_load_dword v27, s[4:7], 0 offen lds                 // 000000003B68: E0511000 8001001B
	v_mfma_f32_16x16x16_bf16 v[52:55], a[98:99], a[18:19], v[52:55]// 000000003B70: D3E10034 1CD22562
	s_add_u32 m0, 0x900, s44                                   // 000000003B78: 807C2CFF 00000900
	buffer_load_dword v28, s[4:7], 0 offen lds                 // 000000003B80: E0511000 8001001C
	ds_read_b128 a[80:83], v31 offset:2048                     // 000000003B88: DBFE0800 5000001F
	ds_read_b128 a[84:87], v31 offset:2112                     // 000000003B90: DBFE0840 5400001F
	v_mfma_f32_16x16x16_bf16 v[52:55], a[100:101], a[20:21], v[52:55]// 000000003B98: D3E10034 1CD22964
	s_add_u32 m0, 0xa00, s44                                   // 000000003BA0: 807C2CFF 00000A00
	buffer_load_dword v29, s[4:7], 0 offen lds                 // 000000003BA8: E0511000 8001001D
	v_mfma_f32_16x16x16_bf16 v[52:55], a[102:103], a[22:23], v[52:55]// 000000003BB0: D3E10034 1CD22D66
	s_add_u32 m0, 0xb00, s44                                   // 000000003BB8: 807C2CFF 00000B00
	buffer_load_dword v30, s[4:7], 0 offen lds                 // 000000003BC0: E0511000 8001001E
	ds_read_b128 a[88:91], v31 offset:2560                     // 000000003BC8: DBFE0A00 5800001F
	ds_read_b128 a[92:95], v31 offset:2624                     // 000000003BD0: DBFE0A40 5C00001F
	v_mfma_f32_16x16x16_bf16 v[56:59], a[96:97], a[24:25], v[56:59]// 000000003BD8: D3E10038 1CE23160
	s_add_u32 s31, 0x100, s33                                  // 000000003BE0: 801F21FF 00000100
	s_cmp_lt_u32 s31, s34                                      // 000000003BE8: BF0A221F
	s_cselect_b32 s40, s40, 0                                  // 000000003BEC: 85288028
	s_add_u32 m0, 0, s47                                       // 000000003BF0: 807C2F80
	buffer_load_dword v32, s[8:11], 0 offen lds                // 000000003BF4: E0511000 80020020
	v_mfma_f32_16x16x16_bf16 v[56:59], a[98:99], a[26:27], v[56:59]// 000000003BFC: D3E10038 1CE23562
	s_add_u32 m0, 0x100, s47                                   // 000000003C04: 807C2FFF 00000100
	buffer_load_dword v33, s[8:11], 0 offen lds                // 000000003C0C: E0511000 80020021
	s_add_u32 s4, s40, s4                                      // 000000003C14: 80040428
	s_addc_u32 s5, 0, s5                                       // 000000003C18: 82050580
	ds_read_b128 a[104:107], v40 offset:37248                  // 000000003C1C: DBFE9180 68000028
	ds_read_b128 a[108:111], v40 offset:37312                  // 000000003C24: DBFE91C0 6C000028
	v_mfma_f32_16x16x16_bf16 v[56:59], a[100:101], a[28:29], v[56:59]// 000000003C2C: D3E10038 1CE23964
	s_add_u32 m0, 0x200, s47                                   // 000000003C34: 807C2FFF 00000200
	buffer_load_dword v34, s[8:11], 0 offen lds                // 000000003C3C: E0511000 80020022
	v_mfma_f32_16x16x16_bf16 v[56:59], a[102:103], a[30:31], v[56:59]// 000000003C44: D3E10038 1CE23D66
	s_add_u32 m0, 0x300, s47                                   // 000000003C4C: 807C2FFF 00000300
	buffer_load_dword v35, s[8:11], 0 offen lds                // 000000003C54: E0511000 80020023
	v_mfma_f32_16x16x16_bf16 v[60:63], a[96:97], a[32:33], v[60:63]// 000000003C5C: D3E1003C 1CF24160
	s_add_u32 m0, 0x400, s47                                   // 000000003C64: 807C2FFF 00000400
	buffer_load_dword v36, s[8:11], 0 offen lds                // 000000003C6C: E0511000 80020024
	v_mfma_f32_16x16x16_bf16 v[60:63], a[98:99], a[34:35], v[60:63]// 000000003C74: D3E1003C 1CF24562
	s_add_u32 m0, 0x500, s47                                   // 000000003C7C: 807C2FFF 00000500
	buffer_load_dword v37, s[8:11], 0 offen lds                // 000000003C84: E0511000 80020025
	v_mfma_f32_16x16x16_bf16 v[60:63], a[100:101], a[36:37], v[60:63]// 000000003C8C: D3E1003C 1CF24964
	s_add_u32 m0, 0x600, s47                                   // 000000003C94: 807C2FFF 00000600
	buffer_load_dword v38, s[8:11], 0 offen lds                // 000000003C9C: E0511000 80020026
	v_mfma_f32_16x16x16_bf16 v[60:63], a[102:103], a[38:39], v[60:63]// 000000003CA4: D3E1003C 1CF24D66
	s_add_u32 m0, 0x700, s47                                   // 000000003CAC: 807C2FFF 00000700
	buffer_load_dword v39, s[8:11], 0 offen lds                // 000000003CB4: E0511000 80020027
	v_mfma_f32_16x16x16_bf16 v[64:67], a[96:97], a[40:41], v[64:67]// 000000003CBC: D3E10040 1D025160
	s_add_u32 s31, 0x100, s33                                  // 000000003CC4: 801F21FF 00000100
	s_cmp_lt_u32 s31, s34                                      // 000000003CCC: BF0A221F
	s_cselect_b32 s41, s41, 0                                  // 000000003CD0: 85298029
	v_mfma_f32_16x16x16_bf16 v[64:67], a[98:99], a[42:43], v[64:67]// 000000003CD4: D3E10040 1D025562
	s_add_u32 s8, s41, s8                                      // 000000003CDC: 80080829
	s_addc_u32 s9, 0, s9                                       // 000000003CE0: 82090980
	v_mfma_f32_16x16x16_bf16 v[64:67], a[100:101], a[44:45], v[64:67]// 000000003CE4: D3E10040 1D025964
	v_mfma_f32_16x16x16_bf16 v[64:67], a[102:103], a[46:47], v[64:67]// 000000003CEC: D3E10040 1D025D66
	s_addk_i32 s33, 0x40                                       // 000000003CF4: B7210040
	s_cmp_lt_i32 s33, s34                                      // 000000003CF8: BF042221
	s_cbranch_scc0 label_0B05                                  // 000000003CFC: BF840605
	s_waitcnt vmcnt(20) lgkmcnt(0)                             // 000000003D00: BF8C4074
	s_barrier                                                  // 000000003D04: BF8A0000
	v_mfma_f32_16x16x16_bf16 v[44:47], a[104:105], a[48:49], v[44:47]// 000000003D08: D3E1002C 1CB26168
	s_add_u32 m0, 0, s42                                       // 000000003D10: 807C2A80
	buffer_load_dword v19, s[4:7], 0 offen lds                 // 000000003D14: E0511000 80010013
	v_mfma_f32_16x16x16_bf16 v[44:47], a[106:107], a[50:51], v[44:47]// 000000003D1C: D3E1002C 1CB2656A
	s_add_u32 m0, 0x100, s42                                   // 000000003D24: 807C2AFF 00000100
	buffer_load_dword v20, s[4:7], 0 offen lds                 // 000000003D2C: E0511000 80010014
	ds_read_b128 a[0:3], v31 offset:12416                      // 000000003D34: DBFE3080 0000001F
	ds_read_b128 a[4:7], v31 offset:12480                      // 000000003D3C: DBFE30C0 0400001F
	v_mfma_f32_16x16x16_bf16 v[44:47], a[108:109], a[52:53], v[44:47]// 000000003D44: D3E1002C 1CB2696C
	s_add_u32 m0, 0x200, s42                                   // 000000003D4C: 807C2AFF 00000200
	buffer_load_dword v21, s[4:7], 0 offen lds                 // 000000003D54: E0511000 80010015
	v_mfma_f32_16x16x16_bf16 v[44:47], a[110:111], a[54:55], v[44:47]// 000000003D5C: D3E1002C 1CB26D6E
	s_add_u32 m0, 0x300, s42                                   // 000000003D64: 807C2AFF 00000300
	buffer_load_dword v22, s[4:7], 0 offen lds                 // 000000003D6C: E0511000 80010016
	ds_read_b128 a[8:11], v31 offset:12928                     // 000000003D74: DBFE3280 0800001F
	ds_read_b128 a[12:15], v31 offset:12992                    // 000000003D7C: DBFE32C0 0C00001F
	v_mfma_f32_16x16x16_bf16 v[48:51], a[104:105], a[56:57], v[48:51]// 000000003D84: D3E10030 1CC27168
	s_add_u32 m0, 0x400, s42                                   // 000000003D8C: 807C2AFF 00000400
	buffer_load_dword v23, s[4:7], 0 offen lds                 // 000000003D94: E0511000 80010017
	v_mfma_f32_16x16x16_bf16 v[48:51], a[106:107], a[58:59], v[48:51]// 000000003D9C: D3E10030 1CC2756A
	s_add_u32 m0, 0x500, s42                                   // 000000003DA4: 807C2AFF 00000500
	buffer_load_dword v24, s[4:7], 0 offen lds                 // 000000003DAC: E0511000 80010018
	ds_read_b128 a[16:19], v31 offset:13440                    // 000000003DB4: DBFE3480 1000001F
	ds_read_b128 a[20:23], v31 offset:13504                    // 000000003DBC: DBFE34C0 1400001F
	v_mfma_f32_16x16x16_bf16 v[48:51], a[108:109], a[60:61], v[48:51]// 000000003DC4: D3E10030 1CC2796C
	s_add_u32 m0, 0x600, s42                                   // 000000003DCC: 807C2AFF 00000600
	buffer_load_dword v25, s[4:7], 0 offen lds                 // 000000003DD4: E0511000 80010019
	v_mfma_f32_16x16x16_bf16 v[48:51], a[110:111], a[62:63], v[48:51]// 000000003DDC: D3E10030 1CC27D6E
	s_add_u32 m0, 0x700, s42                                   // 000000003DE4: 807C2AFF 00000700
	buffer_load_dword v26, s[4:7], 0 offen lds                 // 000000003DEC: E0511000 8001001A
	ds_read_b128 a[24:27], v31 offset:13952                    // 000000003DF4: DBFE3680 1800001F
	ds_read_b128 a[28:31], v31 offset:14016                    // 000000003DFC: DBFE36C0 1C00001F
	v_mfma_f32_16x16x16_bf16 v[52:55], a[104:105], a[64:65], v[52:55]// 000000003E04: D3E10034 1CD28168
	s_add_u32 m0, 0x800, s42                                   // 000000003E0C: 807C2AFF 00000800
	buffer_load_dword v27, s[4:7], 0 offen lds                 // 000000003E14: E0511000 8001001B
	v_mfma_f32_16x16x16_bf16 v[52:55], a[106:107], a[66:67], v[52:55]// 000000003E1C: D3E10034 1CD2856A
	s_add_u32 m0, 0x900, s42                                   // 000000003E24: 807C2AFF 00000900
	buffer_load_dword v28, s[4:7], 0 offen lds                 // 000000003E2C: E0511000 8001001C
	ds_read_b128 a[32:35], v31 offset:14464                    // 000000003E34: DBFE3880 2000001F
	ds_read_b128 a[36:39], v31 offset:14528                    // 000000003E3C: DBFE38C0 2400001F
	v_mfma_f32_16x16x16_bf16 v[52:55], a[108:109], a[68:69], v[52:55]// 000000003E44: D3E10034 1CD2896C
	s_add_u32 m0, 0xa00, s42                                   // 000000003E4C: 807C2AFF 00000A00
	buffer_load_dword v29, s[4:7], 0 offen lds                 // 000000003E54: E0511000 8001001D
	v_mfma_f32_16x16x16_bf16 v[52:55], a[110:111], a[70:71], v[52:55]// 000000003E5C: D3E10034 1CD28D6E
	s_add_u32 m0, 0xb00, s42                                   // 000000003E64: 807C2AFF 00000B00
	buffer_load_dword v30, s[4:7], 0 offen lds                 // 000000003E6C: E0511000 8001001E
	ds_read_b128 a[40:43], v31 offset:14976                    // 000000003E74: DBFE3A80 2800001F
	ds_read_b128 a[44:47], v31 offset:15040                    // 000000003E7C: DBFE3AC0 2C00001F
	v_mfma_f32_16x16x16_bf16 v[56:59], a[104:105], a[72:73], v[56:59]// 000000003E84: D3E10038 1CE29168
	s_add_u32 s31, 0x100, s33                                  // 000000003E8C: 801F21FF 00000100
	s_cmp_lt_u32 s31, s34                                      // 000000003E94: BF0A221F
	s_cselect_b32 s40, s40, 0                                  // 000000003E98: 85288028
	s_add_u32 m0, 0, s45                                       // 000000003E9C: 807C2D80
	buffer_load_dword v32, s[8:11], 0 offen lds                // 000000003EA0: E0511000 80020020
	v_mfma_f32_16x16x16_bf16 v[56:59], a[106:107], a[74:75], v[56:59]// 000000003EA8: D3E10038 1CE2956A
	s_add_u32 m0, 0x100, s45                                   // 000000003EB0: 807C2DFF 00000100
	buffer_load_dword v33, s[8:11], 0 offen lds                // 000000003EB8: E0511000 80020021
	s_add_u32 s4, s40, s4                                      // 000000003EC0: 80040428
	s_addc_u32 s5, 0, s5                                       // 000000003EC4: 82050580
	ds_read_b128 a[96:99], v40 offset:45568                    // 000000003EC8: DBFEB200 60000028
	ds_read_b128 a[100:103], v40 offset:45632                  // 000000003ED0: DBFEB240 64000028
	v_mfma_f32_16x16x16_bf16 v[56:59], a[108:109], a[76:77], v[56:59]// 000000003ED8: D3E10038 1CE2996C
	s_add_u32 m0, 0x200, s45                                   // 000000003EE0: 807C2DFF 00000200
	buffer_load_dword v34, s[8:11], 0 offen lds                // 000000003EE8: E0511000 80020022
	v_mfma_f32_16x16x16_bf16 v[56:59], a[110:111], a[78:79], v[56:59]// 000000003EF0: D3E10038 1CE29D6E
	s_add_u32 m0, 0x300, s45                                   // 000000003EF8: 807C2DFF 00000300
	buffer_load_dword v35, s[8:11], 0 offen lds                // 000000003F00: E0511000 80020023
	v_mfma_f32_16x16x16_bf16 v[60:63], a[104:105], a[80:81], v[60:63]// 000000003F08: D3E1003C 1CF2A168
	s_add_u32 m0, 0x400, s45                                   // 000000003F10: 807C2DFF 00000400
	buffer_load_dword v36, s[8:11], 0 offen lds                // 000000003F18: E0511000 80020024
	v_mfma_f32_16x16x16_bf16 v[60:63], a[106:107], a[82:83], v[60:63]// 000000003F20: D3E1003C 1CF2A56A
	s_add_u32 m0, 0x500, s45                                   // 000000003F28: 807C2DFF 00000500
	buffer_load_dword v37, s[8:11], 0 offen lds                // 000000003F30: E0511000 80020025
	v_mfma_f32_16x16x16_bf16 v[60:63], a[108:109], a[84:85], v[60:63]// 000000003F38: D3E1003C 1CF2A96C
	s_add_u32 m0, 0x600, s45                                   // 000000003F40: 807C2DFF 00000600
	buffer_load_dword v38, s[8:11], 0 offen lds                // 000000003F48: E0511000 80020026
	v_mfma_f32_16x16x16_bf16 v[60:63], a[110:111], a[86:87], v[60:63]// 000000003F50: D3E1003C 1CF2AD6E
	s_add_u32 m0, 0x700, s45                                   // 000000003F58: 807C2DFF 00000700
	buffer_load_dword v39, s[8:11], 0 offen lds                // 000000003F60: E0511000 80020027
	v_mfma_f32_16x16x16_bf16 v[64:67], a[104:105], a[88:89], v[64:67]// 000000003F68: D3E10040 1D02B168
	s_add_u32 s31, 0x100, s33                                  // 000000003F70: 801F21FF 00000100
	s_cmp_lt_u32 s31, s34                                      // 000000003F78: BF0A221F
	s_cselect_b32 s41, s41, 0                                  // 000000003F7C: 85298029
	v_mfma_f32_16x16x16_bf16 v[64:67], a[106:107], a[90:91], v[64:67]// 000000003F80: D3E10040 1D02B56A
	s_add_u32 s8, s41, s8                                      // 000000003F88: 80080829
	s_addc_u32 s9, 0, s9                                       // 000000003F8C: 82090980
	v_mfma_f32_16x16x16_bf16 v[64:67], a[108:109], a[92:93], v[64:67]// 000000003F90: D3E10040 1D02B96C
	v_mfma_f32_16x16x16_bf16 v[64:67], a[110:111], a[94:95], v[64:67]// 000000003F98: D3E10040 1D02BD6E
	s_addk_i32 s33, 0x40                                       // 000000003FA0: B7210040
	s_cmp_lt_i32 s33, s34                                      // 000000003FA4: BF042221
	s_cbranch_scc0 label_0B05                                  // 000000003FA8: BF84055A
	s_waitcnt vmcnt(20) lgkmcnt(0)                             // 000000003FAC: BF8C4074
	s_barrier                                                  // 000000003FB0: BF8A0000
	v_mfma_f32_16x16x16_bf16 v[44:47], a[96:97], a[0:1], v[44:47]// 000000003FB4: D3E1002C 1CB20160
	s_add_u32 m0, 0, s43                                       // 000000003FBC: 807C2B80
	buffer_load_dword v19, s[4:7], 0 offen lds                 // 000000003FC0: E0511000 80010013
	v_mfma_f32_16x16x16_bf16 v[44:47], a[98:99], a[2:3], v[44:47]// 000000003FC8: D3E1002C 1CB20562
	s_add_u32 m0, 0x100, s43                                   // 000000003FD0: 807C2BFF 00000100
	buffer_load_dword v20, s[4:7], 0 offen lds                 // 000000003FD8: E0511000 80010014
	ds_read_b128 a[48:51], v31 offset:24832                    // 000000003FE0: DBFE6100 3000001F
	ds_read_b128 a[52:55], v31 offset:24896                    // 000000003FE8: DBFE6140 3400001F
	v_mfma_f32_16x16x16_bf16 v[44:47], a[100:101], a[4:5], v[44:47]// 000000003FF0: D3E1002C 1CB20964
	s_add_u32 m0, 0x200, s43                                   // 000000003FF8: 807C2BFF 00000200
	buffer_load_dword v21, s[4:7], 0 offen lds                 // 000000004000: E0511000 80010015
	v_mfma_f32_16x16x16_bf16 v[44:47], a[102:103], a[6:7], v[44:47]// 000000004008: D3E1002C 1CB20D66
	s_add_u32 m0, 0x300, s43                                   // 000000004010: 807C2BFF 00000300
	buffer_load_dword v22, s[4:7], 0 offen lds                 // 000000004018: E0511000 80010016
	ds_read_b128 a[56:59], v31 offset:25344                    // 000000004020: DBFE6300 3800001F
	ds_read_b128 a[60:63], v31 offset:25408                    // 000000004028: DBFE6340 3C00001F
	v_mfma_f32_16x16x16_bf16 v[48:51], a[96:97], a[8:9], v[48:51]// 000000004030: D3E10030 1CC21160
	s_add_u32 m0, 0x400, s43                                   // 000000004038: 807C2BFF 00000400
	buffer_load_dword v23, s[4:7], 0 offen lds                 // 000000004040: E0511000 80010017
	v_mfma_f32_16x16x16_bf16 v[48:51], a[98:99], a[10:11], v[48:51]// 000000004048: D3E10030 1CC21562
	s_add_u32 m0, 0x500, s43                                   // 000000004050: 807C2BFF 00000500
	buffer_load_dword v24, s[4:7], 0 offen lds                 // 000000004058: E0511000 80010018
	ds_read_b128 a[64:67], v31 offset:25856                    // 000000004060: DBFE6500 4000001F
	ds_read_b128 a[68:71], v31 offset:25920                    // 000000004068: DBFE6540 4400001F
	v_mfma_f32_16x16x16_bf16 v[48:51], a[100:101], a[12:13], v[48:51]// 000000004070: D3E10030 1CC21964
	s_add_u32 m0, 0x600, s43                                   // 000000004078: 807C2BFF 00000600
	buffer_load_dword v25, s[4:7], 0 offen lds                 // 000000004080: E0511000 80010019
	v_mfma_f32_16x16x16_bf16 v[48:51], a[102:103], a[14:15], v[48:51]// 000000004088: D3E10030 1CC21D66
	s_add_u32 m0, 0x700, s43                                   // 000000004090: 807C2BFF 00000700
	buffer_load_dword v26, s[4:7], 0 offen lds                 // 000000004098: E0511000 8001001A
	ds_read_b128 a[72:75], v31 offset:26368                    // 0000000040A0: DBFE6700 4800001F
	ds_read_b128 a[76:79], v31 offset:26432                    // 0000000040A8: DBFE6740 4C00001F
	v_mfma_f32_16x16x16_bf16 v[52:55], a[96:97], a[16:17], v[52:55]// 0000000040B0: D3E10034 1CD22160
	s_add_u32 m0, 0x800, s43                                   // 0000000040B8: 807C2BFF 00000800
	buffer_load_dword v27, s[4:7], 0 offen lds                 // 0000000040C0: E0511000 8001001B
	v_mfma_f32_16x16x16_bf16 v[52:55], a[98:99], a[18:19], v[52:55]// 0000000040C8: D3E10034 1CD22562
	s_add_u32 m0, 0x900, s43                                   // 0000000040D0: 807C2BFF 00000900
	buffer_load_dword v28, s[4:7], 0 offen lds                 // 0000000040D8: E0511000 8001001C
	ds_read_b128 a[80:83], v31 offset:26880                    // 0000000040E0: DBFE6900 5000001F
	ds_read_b128 a[84:87], v31 offset:26944                    // 0000000040E8: DBFE6940 5400001F
	v_mfma_f32_16x16x16_bf16 v[52:55], a[100:101], a[20:21], v[52:55]// 0000000040F0: D3E10034 1CD22964
	s_add_u32 m0, 0xa00, s43                                   // 0000000040F8: 807C2BFF 00000A00
	buffer_load_dword v29, s[4:7], 0 offen lds                 // 000000004100: E0511000 8001001D
	v_mfma_f32_16x16x16_bf16 v[52:55], a[102:103], a[22:23], v[52:55]// 000000004108: D3E10034 1CD22D66
	s_add_u32 m0, 0xb00, s43                                   // 000000004110: 807C2BFF 00000B00
	buffer_load_dword v30, s[4:7], 0 offen lds                 // 000000004118: E0511000 8001001E
	ds_read_b128 a[88:91], v31 offset:27392                    // 000000004120: DBFE6B00 5800001F
	ds_read_b128 a[92:95], v31 offset:27456                    // 000000004128: DBFE6B40 5C00001F
	v_mfma_f32_16x16x16_bf16 v[56:59], a[96:97], a[24:25], v[56:59]// 000000004130: D3E10038 1CE23160
	s_add_u32 s31, 0x100, s33                                  // 000000004138: 801F21FF 00000100
	s_cmp_lt_u32 s31, s34                                      // 000000004140: BF0A221F
	s_cselect_b32 s40, s40, 0                                  // 000000004144: 85288028
	s_add_u32 m0, 0, s46                                       // 000000004148: 807C2E80
	buffer_load_dword v32, s[8:11], 0 offen lds                // 00000000414C: E0511000 80020020
	v_mfma_f32_16x16x16_bf16 v[56:59], a[98:99], a[26:27], v[56:59]// 000000004154: D3E10038 1CE23562
	s_add_u32 m0, 0x100, s46                                   // 00000000415C: 807C2EFF 00000100
	buffer_load_dword v33, s[8:11], 0 offen lds                // 000000004164: E0511000 80020021
	s_add_u32 s4, s40, s4                                      // 00000000416C: 80040428
	s_addc_u32 s5, 0, s5                                       // 000000004170: 82050580
	ds_read_b128 a[104:107], v40 offset:53888                  // 000000004174: DBFED280 68000028
	ds_read_b128 a[108:111], v40 offset:53952                  // 00000000417C: DBFED2C0 6C000028
	v_mfma_f32_16x16x16_bf16 v[56:59], a[100:101], a[28:29], v[56:59]// 000000004184: D3E10038 1CE23964
	s_add_u32 m0, 0x200, s46                                   // 00000000418C: 807C2EFF 00000200
	buffer_load_dword v34, s[8:11], 0 offen lds                // 000000004194: E0511000 80020022
	v_mfma_f32_16x16x16_bf16 v[56:59], a[102:103], a[30:31], v[56:59]// 00000000419C: D3E10038 1CE23D66
	s_add_u32 m0, 0x300, s46                                   // 0000000041A4: 807C2EFF 00000300
	buffer_load_dword v35, s[8:11], 0 offen lds                // 0000000041AC: E0511000 80020023
	v_mfma_f32_16x16x16_bf16 v[60:63], a[96:97], a[32:33], v[60:63]// 0000000041B4: D3E1003C 1CF24160
	s_add_u32 m0, 0x400, s46                                   // 0000000041BC: 807C2EFF 00000400
	buffer_load_dword v36, s[8:11], 0 offen lds                // 0000000041C4: E0511000 80020024
	v_mfma_f32_16x16x16_bf16 v[60:63], a[98:99], a[34:35], v[60:63]// 0000000041CC: D3E1003C 1CF24562
	s_add_u32 m0, 0x500, s46                                   // 0000000041D4: 807C2EFF 00000500
	buffer_load_dword v37, s[8:11], 0 offen lds                // 0000000041DC: E0511000 80020025
	v_mfma_f32_16x16x16_bf16 v[60:63], a[100:101], a[36:37], v[60:63]// 0000000041E4: D3E1003C 1CF24964
	s_add_u32 m0, 0x600, s46                                   // 0000000041EC: 807C2EFF 00000600
	buffer_load_dword v38, s[8:11], 0 offen lds                // 0000000041F4: E0511000 80020026
	v_mfma_f32_16x16x16_bf16 v[60:63], a[102:103], a[38:39], v[60:63]// 0000000041FC: D3E1003C 1CF24D66
	s_add_u32 m0, 0x700, s46                                   // 000000004204: 807C2EFF 00000700
	buffer_load_dword v39, s[8:11], 0 offen lds                // 00000000420C: E0511000 80020027
	v_mfma_f32_16x16x16_bf16 v[64:67], a[96:97], a[40:41], v[64:67]// 000000004214: D3E10040 1D025160
	s_add_u32 s31, 0x100, s33                                  // 00000000421C: 801F21FF 00000100
	s_cmp_lt_u32 s31, s34                                      // 000000004224: BF0A221F
	s_cselect_b32 s41, s41, 0                                  // 000000004228: 85298029
	v_mfma_f32_16x16x16_bf16 v[64:67], a[98:99], a[42:43], v[64:67]// 00000000422C: D3E10040 1D025562
	s_add_u32 s8, s41, s8                                      // 000000004234: 80080829
	s_addc_u32 s9, 0, s9                                       // 000000004238: 82090980
	v_mfma_f32_16x16x16_bf16 v[64:67], a[100:101], a[44:45], v[64:67]// 00000000423C: D3E10040 1D025964
	v_mfma_f32_16x16x16_bf16 v[64:67], a[102:103], a[46:47], v[64:67]// 000000004244: D3E10040 1D025D66
	s_addk_i32 s33, 0x40                                       // 00000000424C: B7210040
	s_cmp_lt_i32 s33, s34                                      // 000000004250: BF042221
	s_cbranch_scc0 label_0B05                                  // 000000004254: BF8404AF
	s_waitcnt vmcnt(20) lgkmcnt(0)                             // 000000004258: BF8C4074
	s_barrier                                                  // 00000000425C: BF8A0000
	v_mfma_f32_16x16x16_bf16 v[44:47], a[104:105], a[48:49], v[44:47]// 000000004260: D3E1002C 1CB26168
	s_add_u32 m0, 0, s44                                       // 000000004268: 807C2C80
	buffer_load_dword v19, s[4:7], 0 offen lds                 // 00000000426C: E0511000 80010013
	v_mfma_f32_16x16x16_bf16 v[44:47], a[106:107], a[50:51], v[44:47]// 000000004274: D3E1002C 1CB2656A
	s_add_u32 m0, 0x100, s44                                   // 00000000427C: 807C2CFF 00000100
	buffer_load_dword v20, s[4:7], 0 offen lds                 // 000000004284: E0511000 80010014
	ds_read_b128 a[0:3], v31                                   // 00000000428C: DBFE0000 0000001F
	ds_read_b128 a[4:7], v31 offset:64                         // 000000004294: DBFE0040 0400001F
	v_mfma_f32_16x16x16_bf16 v[44:47], a[108:109], a[52:53], v[44:47]// 00000000429C: D3E1002C 1CB2696C
	s_add_u32 m0, 0x200, s44                                   // 0000000042A4: 807C2CFF 00000200
	buffer_load_dword v21, s[4:7], 0 offen lds                 // 0000000042AC: E0511000 80010015
	v_mfma_f32_16x16x16_bf16 v[44:47], a[110:111], a[54:55], v[44:47]// 0000000042B4: D3E1002C 1CB26D6E
	s_add_u32 m0, 0x300, s44                                   // 0000000042BC: 807C2CFF 00000300
	buffer_load_dword v22, s[4:7], 0 offen lds                 // 0000000042C4: E0511000 80010016
	ds_read_b128 a[8:11], v31 offset:512                       // 0000000042CC: DBFE0200 0800001F
	ds_read_b128 a[12:15], v31 offset:576                      // 0000000042D4: DBFE0240 0C00001F
	v_mfma_f32_16x16x16_bf16 v[48:51], a[104:105], a[56:57], v[48:51]// 0000000042DC: D3E10030 1CC27168
	s_add_u32 m0, 0x400, s44                                   // 0000000042E4: 807C2CFF 00000400
	buffer_load_dword v23, s[4:7], 0 offen lds                 // 0000000042EC: E0511000 80010017
	v_mfma_f32_16x16x16_bf16 v[48:51], a[106:107], a[58:59], v[48:51]// 0000000042F4: D3E10030 1CC2756A
	s_add_u32 m0, 0x500, s44                                   // 0000000042FC: 807C2CFF 00000500
	buffer_load_dword v24, s[4:7], 0 offen lds                 // 000000004304: E0511000 80010018
	ds_read_b128 a[16:19], v31 offset:1024                     // 00000000430C: DBFE0400 1000001F
	ds_read_b128 a[20:23], v31 offset:1088                     // 000000004314: DBFE0440 1400001F
	v_mfma_f32_16x16x16_bf16 v[48:51], a[108:109], a[60:61], v[48:51]// 00000000431C: D3E10030 1CC2796C
	s_add_u32 m0, 0x600, s44                                   // 000000004324: 807C2CFF 00000600
	buffer_load_dword v25, s[4:7], 0 offen lds                 // 00000000432C: E0511000 80010019
	v_mfma_f32_16x16x16_bf16 v[48:51], a[110:111], a[62:63], v[48:51]// 000000004334: D3E10030 1CC27D6E
	s_add_u32 m0, 0x700, s44                                   // 00000000433C: 807C2CFF 00000700
	buffer_load_dword v26, s[4:7], 0 offen lds                 // 000000004344: E0511000 8001001A
	ds_read_b128 a[24:27], v31 offset:1536                     // 00000000434C: DBFE0600 1800001F
	ds_read_b128 a[28:31], v31 offset:1600                     // 000000004354: DBFE0640 1C00001F
	v_mfma_f32_16x16x16_bf16 v[52:55], a[104:105], a[64:65], v[52:55]// 00000000435C: D3E10034 1CD28168
	s_add_u32 m0, 0x800, s44                                   // 000000004364: 807C2CFF 00000800
	buffer_load_dword v27, s[4:7], 0 offen lds                 // 00000000436C: E0511000 8001001B
	v_mfma_f32_16x16x16_bf16 v[52:55], a[106:107], a[66:67], v[52:55]// 000000004374: D3E10034 1CD2856A
	s_add_u32 m0, 0x900, s44                                   // 00000000437C: 807C2CFF 00000900
	buffer_load_dword v28, s[4:7], 0 offen lds                 // 000000004384: E0511000 8001001C
	ds_read_b128 a[32:35], v31 offset:2048                     // 00000000438C: DBFE0800 2000001F
	ds_read_b128 a[36:39], v31 offset:2112                     // 000000004394: DBFE0840 2400001F
	v_mfma_f32_16x16x16_bf16 v[52:55], a[108:109], a[68:69], v[52:55]// 00000000439C: D3E10034 1CD2896C
	s_add_u32 m0, 0xa00, s44                                   // 0000000043A4: 807C2CFF 00000A00
	buffer_load_dword v29, s[4:7], 0 offen lds                 // 0000000043AC: E0511000 8001001D
	v_mfma_f32_16x16x16_bf16 v[52:55], a[110:111], a[70:71], v[52:55]// 0000000043B4: D3E10034 1CD28D6E
	s_add_u32 m0, 0xb00, s44                                   // 0000000043BC: 807C2CFF 00000B00
	buffer_load_dword v30, s[4:7], 0 offen lds                 // 0000000043C4: E0511000 8001001E
	ds_read_b128 a[40:43], v31 offset:2560                     // 0000000043CC: DBFE0A00 2800001F
	ds_read_b128 a[44:47], v31 offset:2624                     // 0000000043D4: DBFE0A40 2C00001F
	v_mfma_f32_16x16x16_bf16 v[56:59], a[104:105], a[72:73], v[56:59]// 0000000043DC: D3E10038 1CE29168
	s_add_u32 s31, 0x100, s33                                  // 0000000043E4: 801F21FF 00000100
	s_cmp_lt_u32 s31, s34                                      // 0000000043EC: BF0A221F
	s_cselect_b32 s40, s40, 0                                  // 0000000043F0: 85288028
	s_add_u32 m0, 0, s47                                       // 0000000043F4: 807C2F80
	buffer_load_dword v32, s[8:11], 0 offen lds                // 0000000043F8: E0511000 80020020
	v_mfma_f32_16x16x16_bf16 v[56:59], a[106:107], a[74:75], v[56:59]// 000000004400: D3E10038 1CE2956A
	s_add_u32 m0, 0x100, s47                                   // 000000004408: 807C2FFF 00000100
	buffer_load_dword v33, s[8:11], 0 offen lds                // 000000004410: E0511000 80020021
	s_add_u32 s4, s40, s4                                      // 000000004418: 80040428
	s_addc_u32 s5, 0, s5                                       // 00000000441C: 82050580
	ds_read_b128 a[96:99], v40 offset:37248                    // 000000004420: DBFE9180 60000028
	ds_read_b128 a[100:103], v40 offset:37312                  // 000000004428: DBFE91C0 64000028
	v_mfma_f32_16x16x16_bf16 v[56:59], a[108:109], a[76:77], v[56:59]// 000000004430: D3E10038 1CE2996C
	s_add_u32 m0, 0x200, s47                                   // 000000004438: 807C2FFF 00000200
	buffer_load_dword v34, s[8:11], 0 offen lds                // 000000004440: E0511000 80020022
	v_mfma_f32_16x16x16_bf16 v[56:59], a[110:111], a[78:79], v[56:59]// 000000004448: D3E10038 1CE29D6E
	s_add_u32 m0, 0x300, s47                                   // 000000004450: 807C2FFF 00000300
	buffer_load_dword v35, s[8:11], 0 offen lds                // 000000004458: E0511000 80020023
	v_mfma_f32_16x16x16_bf16 v[60:63], a[104:105], a[80:81], v[60:63]// 000000004460: D3E1003C 1CF2A168
	s_add_u32 m0, 0x400, s47                                   // 000000004468: 807C2FFF 00000400
	buffer_load_dword v36, s[8:11], 0 offen lds                // 000000004470: E0511000 80020024
	v_mfma_f32_16x16x16_bf16 v[60:63], a[106:107], a[82:83], v[60:63]// 000000004478: D3E1003C 1CF2A56A
	s_add_u32 m0, 0x500, s47                                   // 000000004480: 807C2FFF 00000500
	buffer_load_dword v37, s[8:11], 0 offen lds                // 000000004488: E0511000 80020025
	v_mfma_f32_16x16x16_bf16 v[60:63], a[108:109], a[84:85], v[60:63]// 000000004490: D3E1003C 1CF2A96C
	s_add_u32 m0, 0x600, s47                                   // 000000004498: 807C2FFF 00000600
	buffer_load_dword v38, s[8:11], 0 offen lds                // 0000000044A0: E0511000 80020026
	v_mfma_f32_16x16x16_bf16 v[60:63], a[110:111], a[86:87], v[60:63]// 0000000044A8: D3E1003C 1CF2AD6E
	s_add_u32 m0, 0x700, s47                                   // 0000000044B0: 807C2FFF 00000700
	buffer_load_dword v39, s[8:11], 0 offen lds                // 0000000044B8: E0511000 80020027
	v_mfma_f32_16x16x16_bf16 v[64:67], a[104:105], a[88:89], v[64:67]// 0000000044C0: D3E10040 1D02B168
	s_add_u32 s31, 0x100, s33                                  // 0000000044C8: 801F21FF 00000100
	s_cmp_lt_u32 s31, s34                                      // 0000000044D0: BF0A221F
	s_cselect_b32 s41, s41, 0                                  // 0000000044D4: 85298029
	v_mfma_f32_16x16x16_bf16 v[64:67], a[106:107], a[90:91], v[64:67]// 0000000044D8: D3E10040 1D02B56A
	s_add_u32 s8, s41, s8                                      // 0000000044E0: 80080829
	s_addc_u32 s9, 0, s9                                       // 0000000044E4: 82090980
	v_mfma_f32_16x16x16_bf16 v[64:67], a[108:109], a[92:93], v[64:67]// 0000000044E8: D3E10040 1D02B96C
	v_mfma_f32_16x16x16_bf16 v[64:67], a[110:111], a[94:95], v[64:67]// 0000000044F0: D3E10040 1D02BD6E
	s_addk_i32 s33, 0x40                                       // 0000000044F8: B7210040
	s_cmp_lt_i32 s33, s34                                      // 0000000044FC: BF042221
	s_cbranch_scc0 label_0B05                                  // 000000004500: BF840404
	s_branch label_02FF                                        // 000000004504: BF82FBFD

0000000000004508 <label_0702>:
	s_waitcnt vmcnt(20) lgkmcnt(0)                             // 000000004508: BF8C4074
	s_barrier                                                  // 00000000450C: BF8A0000
	v_mfma_f32_16x16x16_bf16 v[44:47], a[96:97], a[0:1], v[44:47]// 000000004510: D3E1002C 1CB20160
	s_add_u32 m0, 0, s42                                       // 000000004518: 807C2A80
	buffer_load_dword v19, s[4:7], 0 offen lds                 // 00000000451C: E0511000 80010013
	ds_read_b128 a[48:51], v31 offset:12416                    // 000000004524: DBFE3080 3000001F
	ds_read_b128 a[52:55], v31 offset:12480                    // 00000000452C: DBFE30C0 3400001F
	v_mfma_f32_16x16x16_bf16 v[44:47], a[98:99], a[2:3], v[44:47]// 000000004534: D3E1002C 1CB20562
	s_add_u32 m0, 0x100, s42                                   // 00000000453C: 807C2AFF 00000100
	buffer_load_dword v20, s[4:7], 0 offen lds                 // 000000004544: E0511000 80010014
	v_mfma_f32_16x16x16_bf16 v[44:47], a[100:101], a[4:5], v[44:47]// 00000000454C: D3E1002C 1CB20964
	s_add_u32 m0, 0x200, s42                                   // 000000004554: 807C2AFF 00000200
	buffer_load_dword v21, s[4:7], 0 offen lds                 // 00000000455C: E0511000 80010015
	ds_read_b128 a[56:59], v31 offset:12928                    // 000000004564: DBFE3280 3800001F
	ds_read_b128 a[60:63], v31 offset:12992                    // 00000000456C: DBFE32C0 3C00001F
	v_mfma_f32_16x16x16_bf16 v[44:47], a[102:103], a[6:7], v[44:47]// 000000004574: D3E1002C 1CB20D66
	s_add_u32 m0, 0x300, s42                                   // 00000000457C: 807C2AFF 00000300
	buffer_load_dword v22, s[4:7], 0 offen lds                 // 000000004584: E0511000 80010016
	v_mfma_f32_16x16x16_bf16 v[48:51], a[96:97], a[8:9], v[48:51]// 00000000458C: D3E10030 1CC21160
	s_add_u32 m0, 0x400, s42                                   // 000000004594: 807C2AFF 00000400
	buffer_load_dword v23, s[4:7], 0 offen lds                 // 00000000459C: E0511000 80010017
	ds_read_b128 a[64:67], v31 offset:13440                    // 0000000045A4: DBFE3480 4000001F
	ds_read_b128 a[68:71], v31 offset:13504                    // 0000000045AC: DBFE34C0 4400001F
	v_mfma_f32_16x16x16_bf16 v[48:51], a[98:99], a[10:11], v[48:51]// 0000000045B4: D3E10030 1CC21562
	s_add_u32 m0, 0x500, s42                                   // 0000000045BC: 807C2AFF 00000500
	buffer_load_dword v24, s[4:7], 0 offen lds                 // 0000000045C4: E0511000 80010018
	v_mfma_f32_16x16x16_bf16 v[48:51], a[100:101], a[12:13], v[48:51]// 0000000045CC: D3E10030 1CC21964
	s_add_u32 m0, 0x600, s42                                   // 0000000045D4: 807C2AFF 00000600
	buffer_load_dword v25, s[4:7], 0 offen lds                 // 0000000045DC: E0511000 80010019
	ds_read_b128 a[72:75], v31 offset:13952                    // 0000000045E4: DBFE3680 4800001F
	ds_read_b128 a[76:79], v31 offset:14016                    // 0000000045EC: DBFE36C0 4C00001F
	v_mfma_f32_16x16x16_bf16 v[48:51], a[102:103], a[14:15], v[48:51]// 0000000045F4: D3E10030 1CC21D66
	s_add_u32 m0, 0x700, s42                                   // 0000000045FC: 807C2AFF 00000700
	buffer_load_dword v26, s[4:7], 0 offen lds                 // 000000004604: E0511000 8001001A
	v_mfma_f32_16x16x16_bf16 v[52:55], a[96:97], a[16:17], v[52:55]// 00000000460C: D3E10034 1CD22160
	s_add_u32 m0, 0x800, s42                                   // 000000004614: 807C2AFF 00000800
	buffer_load_dword v27, s[4:7], 0 offen lds                 // 00000000461C: E0511000 8001001B
	ds_read_b128 a[80:83], v31 offset:14464                    // 000000004624: DBFE3880 5000001F
	ds_read_b128 a[84:87], v31 offset:14528                    // 00000000462C: DBFE38C0 5400001F
	v_mfma_f32_16x16x16_bf16 v[52:55], a[98:99], a[18:19], v[52:55]// 000000004634: D3E10034 1CD22562
	s_add_u32 m0, 0x900, s42                                   // 00000000463C: 807C2AFF 00000900
	buffer_load_dword v28, s[4:7], 0 offen lds                 // 000000004644: E0511000 8001001C
	v_mfma_f32_16x16x16_bf16 v[52:55], a[100:101], a[20:21], v[52:55]// 00000000464C: D3E10034 1CD22964
	s_add_u32 m0, 0xa00, s42                                   // 000000004654: 807C2AFF 00000A00
	buffer_load_dword v29, s[4:7], 0 offen lds                 // 00000000465C: E0511000 8001001D
	ds_read_b128 a[88:91], v31 offset:14976                    // 000000004664: DBFE3A80 5800001F
	ds_read_b128 a[92:95], v31 offset:15040                    // 00000000466C: DBFE3AC0 5C00001F
	v_mfma_f32_16x16x16_bf16 v[52:55], a[102:103], a[22:23], v[52:55]// 000000004674: D3E10034 1CD22D66
	s_add_u32 m0, 0xb00, s42                                   // 00000000467C: 807C2AFF 00000B00
	buffer_load_dword v30, s[4:7], 0 offen lds                 // 000000004684: E0511000 8001001E
	v_mfma_f32_16x16x16_bf16 v[56:59], a[96:97], a[24:25], v[56:59]// 00000000468C: D3E10038 1CE23160
	s_add_u32 s31, 0x100, s33                                  // 000000004694: 801F21FF 00000100
	s_cmp_lt_u32 s31, s34                                      // 00000000469C: BF0A221F
	s_cselect_b32 s40, s40, 0                                  // 0000000046A0: 85288028
	s_add_u32 m0, 0, s45                                       // 0000000046A4: 807C2D80
	buffer_load_dword v32, s[8:11], 0 offen lds                // 0000000046A8: E0511000 80020020
	s_add_u32 s4, s40, s4                                      // 0000000046B0: 80040428
	s_addc_u32 s5, 0, s5                                       // 0000000046B4: 82050580
	ds_read_b128 a[104:107], v40 offset:45568                  // 0000000046B8: DBFEB200 68000028
	ds_read_b128 a[108:111], v40 offset:45632                  // 0000000046C0: DBFEB240 6C000028
	v_mfma_f32_16x16x16_bf16 v[56:59], a[98:99], a[26:27], v[56:59]// 0000000046C8: D3E10038 1CE23562
	s_add_u32 m0, 0x100, s45                                   // 0000000046D0: 807C2DFF 00000100
	buffer_load_dword v33, s[8:11], 0 offen lds                // 0000000046D8: E0511000 80020021
	v_mfma_f32_16x16x16_bf16 v[56:59], a[100:101], a[28:29], v[56:59]// 0000000046E0: D3E10038 1CE23964
	s_add_u32 m0, 0x200, s45                                   // 0000000046E8: 807C2DFF 00000200
	buffer_load_dword v34, s[8:11], 0 offen lds                // 0000000046F0: E0511000 80020022
	v_mfma_f32_16x16x16_bf16 v[56:59], a[102:103], a[30:31], v[56:59]// 0000000046F8: D3E10038 1CE23D66
	s_add_u32 m0, 0x300, s45                                   // 000000004700: 807C2DFF 00000300
	buffer_load_dword v35, s[8:11], 0 offen lds                // 000000004708: E0511000 80020023
	v_mfma_f32_16x16x16_bf16 v[60:63], a[96:97], a[32:33], v[60:63]// 000000004710: D3E1003C 1CF24160
	s_add_u32 m0, 0x400, s45                                   // 000000004718: 807C2DFF 00000400
	buffer_load_dword v36, s[8:11], 0 offen lds                // 000000004720: E0511000 80020024
	v_mfma_f32_16x16x16_bf16 v[60:63], a[98:99], a[34:35], v[60:63]// 000000004728: D3E1003C 1CF24562
	s_add_u32 m0, 0x500, s45                                   // 000000004730: 807C2DFF 00000500
	buffer_load_dword v37, s[8:11], 0 offen lds                // 000000004738: E0511000 80020025
	v_mfma_f32_16x16x16_bf16 v[60:63], a[100:101], a[36:37], v[60:63]// 000000004740: D3E1003C 1CF24964
	s_add_u32 m0, 0x600, s45                                   // 000000004748: 807C2DFF 00000600
	buffer_load_dword v38, s[8:11], 0 offen lds                // 000000004750: E0511000 80020026
	v_mfma_f32_16x16x16_bf16 v[60:63], a[102:103], a[38:39], v[60:63]// 000000004758: D3E1003C 1CF24D66
	s_add_u32 m0, 0x700, s45                                   // 000000004760: 807C2DFF 00000700
	buffer_load_dword v39, s[8:11], 0 offen lds                // 000000004768: E0511000 80020027
	v_mfma_f32_16x16x16_bf16 v[64:67], a[96:97], a[40:41], v[64:67]// 000000004770: D3E10040 1D025160
	s_add_u32 s31, 0x100, s33                                  // 000000004778: 801F21FF 00000100
	s_cmp_lt_u32 s31, s34                                      // 000000004780: BF0A221F
	s_cselect_b32 s41, s41, 0                                  // 000000004784: 85298029
	s_add_u32 s8, s41, s8                                      // 000000004788: 80080829
	s_addc_u32 s9, 0, s9                                       // 00000000478C: 82090980
	v_mfma_f32_16x16x16_bf16 v[64:67], a[98:99], a[42:43], v[64:67]// 000000004790: D3E10040 1D025562
	v_mfma_f32_16x16x16_bf16 v[64:67], a[100:101], a[44:45], v[64:67]// 000000004798: D3E10040 1D025964
	v_mfma_f32_16x16x16_bf16 v[64:67], a[102:103], a[46:47], v[64:67]// 0000000047A0: D3E10040 1D025D66
	s_addk_i32 s33, 0x40                                       // 0000000047A8: B7210040
	s_cmp_lt_i32 s33, s34                                      // 0000000047AC: BF042221
	s_cbranch_scc0 label_0B05                                  // 0000000047B0: BF840358
	s_waitcnt vmcnt(20) lgkmcnt(0)                             // 0000000047B4: BF8C4074
	s_barrier                                                  // 0000000047B8: BF8A0000
	v_mfma_f32_16x16x16_bf16 v[44:47], a[104:105], a[48:49], v[44:47]// 0000000047BC: D3E1002C 1CB26168
	s_add_u32 m0, 0, s43                                       // 0000000047C4: 807C2B80
	buffer_load_dword v19, s[4:7], 0 offen lds                 // 0000000047C8: E0511000 80010013
	ds_read_b128 a[0:3], v31 offset:24832                      // 0000000047D0: DBFE6100 0000001F
	ds_read_b128 a[4:7], v31 offset:24896                      // 0000000047D8: DBFE6140 0400001F
	v_mfma_f32_16x16x16_bf16 v[44:47], a[106:107], a[50:51], v[44:47]// 0000000047E0: D3E1002C 1CB2656A
	s_add_u32 m0, 0x100, s43                                   // 0000000047E8: 807C2BFF 00000100
	buffer_load_dword v20, s[4:7], 0 offen lds                 // 0000000047F0: E0511000 80010014
	v_mfma_f32_16x16x16_bf16 v[44:47], a[108:109], a[52:53], v[44:47]// 0000000047F8: D3E1002C 1CB2696C
	s_add_u32 m0, 0x200, s43                                   // 000000004800: 807C2BFF 00000200
	buffer_load_dword v21, s[4:7], 0 offen lds                 // 000000004808: E0511000 80010015
	ds_read_b128 a[8:11], v31 offset:25344                     // 000000004810: DBFE6300 0800001F
	ds_read_b128 a[12:15], v31 offset:25408                    // 000000004818: DBFE6340 0C00001F
	v_mfma_f32_16x16x16_bf16 v[44:47], a[110:111], a[54:55], v[44:47]// 000000004820: D3E1002C 1CB26D6E
	s_add_u32 m0, 0x300, s43                                   // 000000004828: 807C2BFF 00000300
	buffer_load_dword v22, s[4:7], 0 offen lds                 // 000000004830: E0511000 80010016
	v_mfma_f32_16x16x16_bf16 v[48:51], a[104:105], a[56:57], v[48:51]// 000000004838: D3E10030 1CC27168
	s_add_u32 m0, 0x400, s43                                   // 000000004840: 807C2BFF 00000400
	buffer_load_dword v23, s[4:7], 0 offen lds                 // 000000004848: E0511000 80010017
	ds_read_b128 a[16:19], v31 offset:25856                    // 000000004850: DBFE6500 1000001F
	ds_read_b128 a[20:23], v31 offset:25920                    // 000000004858: DBFE6540 1400001F
	v_mfma_f32_16x16x16_bf16 v[48:51], a[106:107], a[58:59], v[48:51]// 000000004860: D3E10030 1CC2756A
	s_add_u32 m0, 0x500, s43                                   // 000000004868: 807C2BFF 00000500
	buffer_load_dword v24, s[4:7], 0 offen lds                 // 000000004870: E0511000 80010018
	v_mfma_f32_16x16x16_bf16 v[48:51], a[108:109], a[60:61], v[48:51]// 000000004878: D3E10030 1CC2796C
	s_add_u32 m0, 0x600, s43                                   // 000000004880: 807C2BFF 00000600
	buffer_load_dword v25, s[4:7], 0 offen lds                 // 000000004888: E0511000 80010019
	ds_read_b128 a[24:27], v31 offset:26368                    // 000000004890: DBFE6700 1800001F
	ds_read_b128 a[28:31], v31 offset:26432                    // 000000004898: DBFE6740 1C00001F
	v_mfma_f32_16x16x16_bf16 v[48:51], a[110:111], a[62:63], v[48:51]// 0000000048A0: D3E10030 1CC27D6E
	s_add_u32 m0, 0x700, s43                                   // 0000000048A8: 807C2BFF 00000700
	buffer_load_dword v26, s[4:7], 0 offen lds                 // 0000000048B0: E0511000 8001001A
	v_mfma_f32_16x16x16_bf16 v[52:55], a[104:105], a[64:65], v[52:55]// 0000000048B8: D3E10034 1CD28168
	s_add_u32 m0, 0x800, s43                                   // 0000000048C0: 807C2BFF 00000800
	buffer_load_dword v27, s[4:7], 0 offen lds                 // 0000000048C8: E0511000 8001001B
	ds_read_b128 a[32:35], v31 offset:26880                    // 0000000048D0: DBFE6900 2000001F
	ds_read_b128 a[36:39], v31 offset:26944                    // 0000000048D8: DBFE6940 2400001F
	v_mfma_f32_16x16x16_bf16 v[52:55], a[106:107], a[66:67], v[52:55]// 0000000048E0: D3E10034 1CD2856A
	s_add_u32 m0, 0x900, s43                                   // 0000000048E8: 807C2BFF 00000900
	buffer_load_dword v28, s[4:7], 0 offen lds                 // 0000000048F0: E0511000 8001001C
	v_mfma_f32_16x16x16_bf16 v[52:55], a[108:109], a[68:69], v[52:55]// 0000000048F8: D3E10034 1CD2896C
	s_add_u32 m0, 0xa00, s43                                   // 000000004900: 807C2BFF 00000A00
	buffer_load_dword v29, s[4:7], 0 offen lds                 // 000000004908: E0511000 8001001D
	ds_read_b128 a[40:43], v31 offset:27392                    // 000000004910: DBFE6B00 2800001F
	ds_read_b128 a[44:47], v31 offset:27456                    // 000000004918: DBFE6B40 2C00001F
	v_mfma_f32_16x16x16_bf16 v[52:55], a[110:111], a[70:71], v[52:55]// 000000004920: D3E10034 1CD28D6E
	s_add_u32 m0, 0xb00, s43                                   // 000000004928: 807C2BFF 00000B00
	buffer_load_dword v30, s[4:7], 0 offen lds                 // 000000004930: E0511000 8001001E
	v_mfma_f32_16x16x16_bf16 v[56:59], a[104:105], a[72:73], v[56:59]// 000000004938: D3E10038 1CE29168
	s_add_u32 s31, 0x100, s33                                  // 000000004940: 801F21FF 00000100
	s_cmp_lt_u32 s31, s34                                      // 000000004948: BF0A221F
	s_cselect_b32 s40, s40, 0                                  // 00000000494C: 85288028
	s_add_u32 m0, 0, s46                                       // 000000004950: 807C2E80
	buffer_load_dword v32, s[8:11], 0 offen lds                // 000000004954: E0511000 80020020
	s_add_u32 s4, s40, s4                                      // 00000000495C: 80040428
	s_addc_u32 s5, 0, s5                                       // 000000004960: 82050580
	ds_read_b128 a[96:99], v40 offset:53888                    // 000000004964: DBFED280 60000028
	ds_read_b128 a[100:103], v40 offset:53952                  // 00000000496C: DBFED2C0 64000028
	v_mfma_f32_16x16x16_bf16 v[56:59], a[106:107], a[74:75], v[56:59]// 000000004974: D3E10038 1CE2956A
	s_add_u32 m0, 0x100, s46                                   // 00000000497C: 807C2EFF 00000100
	buffer_load_dword v33, s[8:11], 0 offen lds                // 000000004984: E0511000 80020021
	v_mfma_f32_16x16x16_bf16 v[56:59], a[108:109], a[76:77], v[56:59]// 00000000498C: D3E10038 1CE2996C
	s_add_u32 m0, 0x200, s46                                   // 000000004994: 807C2EFF 00000200
	buffer_load_dword v34, s[8:11], 0 offen lds                // 00000000499C: E0511000 80020022
	v_mfma_f32_16x16x16_bf16 v[56:59], a[110:111], a[78:79], v[56:59]// 0000000049A4: D3E10038 1CE29D6E
	s_add_u32 m0, 0x300, s46                                   // 0000000049AC: 807C2EFF 00000300
	buffer_load_dword v35, s[8:11], 0 offen lds                // 0000000049B4: E0511000 80020023
	v_mfma_f32_16x16x16_bf16 v[60:63], a[104:105], a[80:81], v[60:63]// 0000000049BC: D3E1003C 1CF2A168
	s_add_u32 m0, 0x400, s46                                   // 0000000049C4: 807C2EFF 00000400
	buffer_load_dword v36, s[8:11], 0 offen lds                // 0000000049CC: E0511000 80020024
	v_mfma_f32_16x16x16_bf16 v[60:63], a[106:107], a[82:83], v[60:63]// 0000000049D4: D3E1003C 1CF2A56A
	s_add_u32 m0, 0x500, s46                                   // 0000000049DC: 807C2EFF 00000500
	buffer_load_dword v37, s[8:11], 0 offen lds                // 0000000049E4: E0511000 80020025
	v_mfma_f32_16x16x16_bf16 v[60:63], a[108:109], a[84:85], v[60:63]// 0000000049EC: D3E1003C 1CF2A96C
	s_add_u32 m0, 0x600, s46                                   // 0000000049F4: 807C2EFF 00000600
	buffer_load_dword v38, s[8:11], 0 offen lds                // 0000000049FC: E0511000 80020026
	v_mfma_f32_16x16x16_bf16 v[60:63], a[110:111], a[86:87], v[60:63]// 000000004A04: D3E1003C 1CF2AD6E
	s_add_u32 m0, 0x700, s46                                   // 000000004A0C: 807C2EFF 00000700
	buffer_load_dword v39, s[8:11], 0 offen lds                // 000000004A14: E0511000 80020027
	v_mfma_f32_16x16x16_bf16 v[64:67], a[104:105], a[88:89], v[64:67]// 000000004A1C: D3E10040 1D02B168
	s_add_u32 s31, 0x100, s33                                  // 000000004A24: 801F21FF 00000100
	s_cmp_lt_u32 s31, s34                                      // 000000004A2C: BF0A221F
	s_cselect_b32 s41, s41, 0                                  // 000000004A30: 85298029
	s_add_u32 s8, s41, s8                                      // 000000004A34: 80080829
	s_addc_u32 s9, 0, s9                                       // 000000004A38: 82090980
	v_mfma_f32_16x16x16_bf16 v[64:67], a[106:107], a[90:91], v[64:67]// 000000004A3C: D3E10040 1D02B56A
	v_mfma_f32_16x16x16_bf16 v[64:67], a[108:109], a[92:93], v[64:67]// 000000004A44: D3E10040 1D02B96C
	v_mfma_f32_16x16x16_bf16 v[64:67], a[110:111], a[94:95], v[64:67]// 000000004A4C: D3E10040 1D02BD6E
	s_addk_i32 s33, 0x40                                       // 000000004A54: B7210040
	s_cmp_lt_i32 s33, s34                                      // 000000004A58: BF042221
	s_cbranch_scc0 label_0B05                                  // 000000004A5C: BF8402AD
	s_waitcnt vmcnt(20) lgkmcnt(0)                             // 000000004A60: BF8C4074
	s_barrier                                                  // 000000004A64: BF8A0000
	v_mfma_f32_16x16x16_bf16 v[44:47], a[96:97], a[0:1], v[44:47]// 000000004A68: D3E1002C 1CB20160
	s_add_u32 m0, 0, s44                                       // 000000004A70: 807C2C80
	buffer_load_dword v19, s[4:7], 0 offen lds                 // 000000004A74: E0511000 80010013
	ds_read_b128 a[48:51], v31                                 // 000000004A7C: DBFE0000 3000001F
	ds_read_b128 a[52:55], v31 offset:64                       // 000000004A84: DBFE0040 3400001F
	v_mfma_f32_16x16x16_bf16 v[44:47], a[98:99], a[2:3], v[44:47]// 000000004A8C: D3E1002C 1CB20562
	s_add_u32 m0, 0x100, s44                                   // 000000004A94: 807C2CFF 00000100
	buffer_load_dword v20, s[4:7], 0 offen lds                 // 000000004A9C: E0511000 80010014
	v_mfma_f32_16x16x16_bf16 v[44:47], a[100:101], a[4:5], v[44:47]// 000000004AA4: D3E1002C 1CB20964
	s_add_u32 m0, 0x200, s44                                   // 000000004AAC: 807C2CFF 00000200
	buffer_load_dword v21, s[4:7], 0 offen lds                 // 000000004AB4: E0511000 80010015
	ds_read_b128 a[56:59], v31 offset:512                      // 000000004ABC: DBFE0200 3800001F
	ds_read_b128 a[60:63], v31 offset:576                      // 000000004AC4: DBFE0240 3C00001F
	v_mfma_f32_16x16x16_bf16 v[44:47], a[102:103], a[6:7], v[44:47]// 000000004ACC: D3E1002C 1CB20D66
	s_add_u32 m0, 0x300, s44                                   // 000000004AD4: 807C2CFF 00000300
	buffer_load_dword v22, s[4:7], 0 offen lds                 // 000000004ADC: E0511000 80010016
	v_mfma_f32_16x16x16_bf16 v[48:51], a[96:97], a[8:9], v[48:51]// 000000004AE4: D3E10030 1CC21160
	s_add_u32 m0, 0x400, s44                                   // 000000004AEC: 807C2CFF 00000400
	buffer_load_dword v23, s[4:7], 0 offen lds                 // 000000004AF4: E0511000 80010017
	ds_read_b128 a[64:67], v31 offset:1024                     // 000000004AFC: DBFE0400 4000001F
	ds_read_b128 a[68:71], v31 offset:1088                     // 000000004B04: DBFE0440 4400001F
	v_mfma_f32_16x16x16_bf16 v[48:51], a[98:99], a[10:11], v[48:51]// 000000004B0C: D3E10030 1CC21562
	s_add_u32 m0, 0x500, s44                                   // 000000004B14: 807C2CFF 00000500
	buffer_load_dword v24, s[4:7], 0 offen lds                 // 000000004B1C: E0511000 80010018
	v_mfma_f32_16x16x16_bf16 v[48:51], a[100:101], a[12:13], v[48:51]// 000000004B24: D3E10030 1CC21964
	s_add_u32 m0, 0x600, s44                                   // 000000004B2C: 807C2CFF 00000600
	buffer_load_dword v25, s[4:7], 0 offen lds                 // 000000004B34: E0511000 80010019
	ds_read_b128 a[72:75], v31 offset:1536                     // 000000004B3C: DBFE0600 4800001F
	ds_read_b128 a[76:79], v31 offset:1600                     // 000000004B44: DBFE0640 4C00001F
	v_mfma_f32_16x16x16_bf16 v[48:51], a[102:103], a[14:15], v[48:51]// 000000004B4C: D3E10030 1CC21D66
	s_add_u32 m0, 0x700, s44                                   // 000000004B54: 807C2CFF 00000700
	buffer_load_dword v26, s[4:7], 0 offen lds                 // 000000004B5C: E0511000 8001001A
	v_mfma_f32_16x16x16_bf16 v[52:55], a[96:97], a[16:17], v[52:55]// 000000004B64: D3E10034 1CD22160
	s_add_u32 m0, 0x800, s44                                   // 000000004B6C: 807C2CFF 00000800
	buffer_load_dword v27, s[4:7], 0 offen lds                 // 000000004B74: E0511000 8001001B
	ds_read_b128 a[80:83], v31 offset:2048                     // 000000004B7C: DBFE0800 5000001F
	ds_read_b128 a[84:87], v31 offset:2112                     // 000000004B84: DBFE0840 5400001F
	v_mfma_f32_16x16x16_bf16 v[52:55], a[98:99], a[18:19], v[52:55]// 000000004B8C: D3E10034 1CD22562
	s_add_u32 m0, 0x900, s44                                   // 000000004B94: 807C2CFF 00000900
	buffer_load_dword v28, s[4:7], 0 offen lds                 // 000000004B9C: E0511000 8001001C
	v_mfma_f32_16x16x16_bf16 v[52:55], a[100:101], a[20:21], v[52:55]// 000000004BA4: D3E10034 1CD22964
	s_add_u32 m0, 0xa00, s44                                   // 000000004BAC: 807C2CFF 00000A00
	buffer_load_dword v29, s[4:7], 0 offen lds                 // 000000004BB4: E0511000 8001001D
	ds_read_b128 a[88:91], v31 offset:2560                     // 000000004BBC: DBFE0A00 5800001F
	ds_read_b128 a[92:95], v31 offset:2624                     // 000000004BC4: DBFE0A40 5C00001F
	v_mfma_f32_16x16x16_bf16 v[52:55], a[102:103], a[22:23], v[52:55]// 000000004BCC: D3E10034 1CD22D66
	s_add_u32 m0, 0xb00, s44                                   // 000000004BD4: 807C2CFF 00000B00
	buffer_load_dword v30, s[4:7], 0 offen lds                 // 000000004BDC: E0511000 8001001E
	v_mfma_f32_16x16x16_bf16 v[56:59], a[96:97], a[24:25], v[56:59]// 000000004BE4: D3E10038 1CE23160
	s_add_u32 s31, 0x100, s33                                  // 000000004BEC: 801F21FF 00000100
	s_cmp_lt_u32 s31, s34                                      // 000000004BF4: BF0A221F
	s_cselect_b32 s40, s40, 0                                  // 000000004BF8: 85288028
	s_add_u32 m0, 0, s47                                       // 000000004BFC: 807C2F80
	buffer_load_dword v32, s[8:11], 0 offen lds                // 000000004C00: E0511000 80020020
	s_add_u32 s4, s40, s4                                      // 000000004C08: 80040428
	s_addc_u32 s5, 0, s5                                       // 000000004C0C: 82050580
	ds_read_b128 a[104:107], v40 offset:37248                  // 000000004C10: DBFE9180 68000028
	ds_read_b128 a[108:111], v40 offset:37312                  // 000000004C18: DBFE91C0 6C000028
	v_mfma_f32_16x16x16_bf16 v[56:59], a[98:99], a[26:27], v[56:59]// 000000004C20: D3E10038 1CE23562
	s_add_u32 m0, 0x100, s47                                   // 000000004C28: 807C2FFF 00000100
	buffer_load_dword v33, s[8:11], 0 offen lds                // 000000004C30: E0511000 80020021
	v_mfma_f32_16x16x16_bf16 v[56:59], a[100:101], a[28:29], v[56:59]// 000000004C38: D3E10038 1CE23964
	s_add_u32 m0, 0x200, s47                                   // 000000004C40: 807C2FFF 00000200
	buffer_load_dword v34, s[8:11], 0 offen lds                // 000000004C48: E0511000 80020022
	v_mfma_f32_16x16x16_bf16 v[56:59], a[102:103], a[30:31], v[56:59]// 000000004C50: D3E10038 1CE23D66
	s_add_u32 m0, 0x300, s47                                   // 000000004C58: 807C2FFF 00000300
	buffer_load_dword v35, s[8:11], 0 offen lds                // 000000004C60: E0511000 80020023
	v_mfma_f32_16x16x16_bf16 v[60:63], a[96:97], a[32:33], v[60:63]// 000000004C68: D3E1003C 1CF24160
	s_add_u32 m0, 0x400, s47                                   // 000000004C70: 807C2FFF 00000400
	buffer_load_dword v36, s[8:11], 0 offen lds                // 000000004C78: E0511000 80020024
	v_mfma_f32_16x16x16_bf16 v[60:63], a[98:99], a[34:35], v[60:63]// 000000004C80: D3E1003C 1CF24562
	s_add_u32 m0, 0x500, s47                                   // 000000004C88: 807C2FFF 00000500
	buffer_load_dword v37, s[8:11], 0 offen lds                // 000000004C90: E0511000 80020025
	v_mfma_f32_16x16x16_bf16 v[60:63], a[100:101], a[36:37], v[60:63]// 000000004C98: D3E1003C 1CF24964
	s_add_u32 m0, 0x600, s47                                   // 000000004CA0: 807C2FFF 00000600
	buffer_load_dword v38, s[8:11], 0 offen lds                // 000000004CA8: E0511000 80020026
	v_mfma_f32_16x16x16_bf16 v[60:63], a[102:103], a[38:39], v[60:63]// 000000004CB0: D3E1003C 1CF24D66
	s_add_u32 m0, 0x700, s47                                   // 000000004CB8: 807C2FFF 00000700
	buffer_load_dword v39, s[8:11], 0 offen lds                // 000000004CC0: E0511000 80020027
	v_mfma_f32_16x16x16_bf16 v[64:67], a[96:97], a[40:41], v[64:67]// 000000004CC8: D3E10040 1D025160
	s_add_u32 s31, 0x100, s33                                  // 000000004CD0: 801F21FF 00000100
	s_cmp_lt_u32 s31, s34                                      // 000000004CD8: BF0A221F
	s_cselect_b32 s41, s41, 0                                  // 000000004CDC: 85298029
	s_add_u32 s8, s41, s8                                      // 000000004CE0: 80080829
	s_addc_u32 s9, 0, s9                                       // 000000004CE4: 82090980
	v_mfma_f32_16x16x16_bf16 v[64:67], a[98:99], a[42:43], v[64:67]// 000000004CE8: D3E10040 1D025562
	v_mfma_f32_16x16x16_bf16 v[64:67], a[100:101], a[44:45], v[64:67]// 000000004CF0: D3E10040 1D025964
	v_mfma_f32_16x16x16_bf16 v[64:67], a[102:103], a[46:47], v[64:67]// 000000004CF8: D3E10040 1D025D66
	s_addk_i32 s33, 0x40                                       // 000000004D00: B7210040
	s_cmp_lt_i32 s33, s34                                      // 000000004D04: BF042221
	s_cbranch_scc0 label_0B05                                  // 000000004D08: BF840202
	s_waitcnt vmcnt(20) lgkmcnt(0)                             // 000000004D0C: BF8C4074
	s_barrier                                                  // 000000004D10: BF8A0000
	v_mfma_f32_16x16x16_bf16 v[44:47], a[104:105], a[48:49], v[44:47]// 000000004D14: D3E1002C 1CB26168
	s_add_u32 m0, 0, s42                                       // 000000004D1C: 807C2A80
	buffer_load_dword v19, s[4:7], 0 offen lds                 // 000000004D20: E0511000 80010013
	ds_read_b128 a[0:3], v31 offset:12416                      // 000000004D28: DBFE3080 0000001F
	ds_read_b128 a[4:7], v31 offset:12480                      // 000000004D30: DBFE30C0 0400001F
	v_mfma_f32_16x16x16_bf16 v[44:47], a[106:107], a[50:51], v[44:47]// 000000004D38: D3E1002C 1CB2656A
	s_add_u32 m0, 0x100, s42                                   // 000000004D40: 807C2AFF 00000100
	buffer_load_dword v20, s[4:7], 0 offen lds                 // 000000004D48: E0511000 80010014
	v_mfma_f32_16x16x16_bf16 v[44:47], a[108:109], a[52:53], v[44:47]// 000000004D50: D3E1002C 1CB2696C
	s_add_u32 m0, 0x200, s42                                   // 000000004D58: 807C2AFF 00000200
	buffer_load_dword v21, s[4:7], 0 offen lds                 // 000000004D60: E0511000 80010015
	ds_read_b128 a[8:11], v31 offset:12928                     // 000000004D68: DBFE3280 0800001F
	ds_read_b128 a[12:15], v31 offset:12992                    // 000000004D70: DBFE32C0 0C00001F
	v_mfma_f32_16x16x16_bf16 v[44:47], a[110:111], a[54:55], v[44:47]// 000000004D78: D3E1002C 1CB26D6E
	s_add_u32 m0, 0x300, s42                                   // 000000004D80: 807C2AFF 00000300
	buffer_load_dword v22, s[4:7], 0 offen lds                 // 000000004D88: E0511000 80010016
	v_mfma_f32_16x16x16_bf16 v[48:51], a[104:105], a[56:57], v[48:51]// 000000004D90: D3E10030 1CC27168
	s_add_u32 m0, 0x400, s42                                   // 000000004D98: 807C2AFF 00000400
	buffer_load_dword v23, s[4:7], 0 offen lds                 // 000000004DA0: E0511000 80010017
	ds_read_b128 a[16:19], v31 offset:13440                    // 000000004DA8: DBFE3480 1000001F
	ds_read_b128 a[20:23], v31 offset:13504                    // 000000004DB0: DBFE34C0 1400001F
	v_mfma_f32_16x16x16_bf16 v[48:51], a[106:107], a[58:59], v[48:51]// 000000004DB8: D3E10030 1CC2756A
	s_add_u32 m0, 0x500, s42                                   // 000000004DC0: 807C2AFF 00000500
	buffer_load_dword v24, s[4:7], 0 offen lds                 // 000000004DC8: E0511000 80010018
	v_mfma_f32_16x16x16_bf16 v[48:51], a[108:109], a[60:61], v[48:51]// 000000004DD0: D3E10030 1CC2796C
	s_add_u32 m0, 0x600, s42                                   // 000000004DD8: 807C2AFF 00000600
	buffer_load_dword v25, s[4:7], 0 offen lds                 // 000000004DE0: E0511000 80010019
	ds_read_b128 a[24:27], v31 offset:13952                    // 000000004DE8: DBFE3680 1800001F
	ds_read_b128 a[28:31], v31 offset:14016                    // 000000004DF0: DBFE36C0 1C00001F
	v_mfma_f32_16x16x16_bf16 v[48:51], a[110:111], a[62:63], v[48:51]// 000000004DF8: D3E10030 1CC27D6E
	s_add_u32 m0, 0x700, s42                                   // 000000004E00: 807C2AFF 00000700
	buffer_load_dword v26, s[4:7], 0 offen lds                 // 000000004E08: E0511000 8001001A
	v_mfma_f32_16x16x16_bf16 v[52:55], a[104:105], a[64:65], v[52:55]// 000000004E10: D3E10034 1CD28168
	s_add_u32 m0, 0x800, s42                                   // 000000004E18: 807C2AFF 00000800
	buffer_load_dword v27, s[4:7], 0 offen lds                 // 000000004E20: E0511000 8001001B
	ds_read_b128 a[32:35], v31 offset:14464                    // 000000004E28: DBFE3880 2000001F
	ds_read_b128 a[36:39], v31 offset:14528                    // 000000004E30: DBFE38C0 2400001F
	v_mfma_f32_16x16x16_bf16 v[52:55], a[106:107], a[66:67], v[52:55]// 000000004E38: D3E10034 1CD2856A
	s_add_u32 m0, 0x900, s42                                   // 000000004E40: 807C2AFF 00000900
	buffer_load_dword v28, s[4:7], 0 offen lds                 // 000000004E48: E0511000 8001001C
	v_mfma_f32_16x16x16_bf16 v[52:55], a[108:109], a[68:69], v[52:55]// 000000004E50: D3E10034 1CD2896C
	s_add_u32 m0, 0xa00, s42                                   // 000000004E58: 807C2AFF 00000A00
	buffer_load_dword v29, s[4:7], 0 offen lds                 // 000000004E60: E0511000 8001001D
	ds_read_b128 a[40:43], v31 offset:14976                    // 000000004E68: DBFE3A80 2800001F
	ds_read_b128 a[44:47], v31 offset:15040                    // 000000004E70: DBFE3AC0 2C00001F
	v_mfma_f32_16x16x16_bf16 v[52:55], a[110:111], a[70:71], v[52:55]// 000000004E78: D3E10034 1CD28D6E
	s_add_u32 m0, 0xb00, s42                                   // 000000004E80: 807C2AFF 00000B00
	buffer_load_dword v30, s[4:7], 0 offen lds                 // 000000004E88: E0511000 8001001E
	v_mfma_f32_16x16x16_bf16 v[56:59], a[104:105], a[72:73], v[56:59]// 000000004E90: D3E10038 1CE29168
	s_add_u32 s31, 0x100, s33                                  // 000000004E98: 801F21FF 00000100
	s_cmp_lt_u32 s31, s34                                      // 000000004EA0: BF0A221F
	s_cselect_b32 s40, s40, 0                                  // 000000004EA4: 85288028
	s_add_u32 m0, 0, s45                                       // 000000004EA8: 807C2D80
	buffer_load_dword v32, s[8:11], 0 offen lds                // 000000004EAC: E0511000 80020020
	s_add_u32 s4, s40, s4                                      // 000000004EB4: 80040428
	s_addc_u32 s5, 0, s5                                       // 000000004EB8: 82050580
	ds_read_b128 a[96:99], v40 offset:45568                    // 000000004EBC: DBFEB200 60000028
	ds_read_b128 a[100:103], v40 offset:45632                  // 000000004EC4: DBFEB240 64000028
	v_mfma_f32_16x16x16_bf16 v[56:59], a[106:107], a[74:75], v[56:59]// 000000004ECC: D3E10038 1CE2956A
	s_add_u32 m0, 0x100, s45                                   // 000000004ED4: 807C2DFF 00000100
	buffer_load_dword v33, s[8:11], 0 offen lds                // 000000004EDC: E0511000 80020021
	v_mfma_f32_16x16x16_bf16 v[56:59], a[108:109], a[76:77], v[56:59]// 000000004EE4: D3E10038 1CE2996C
	s_add_u32 m0, 0x200, s45                                   // 000000004EEC: 807C2DFF 00000200
	buffer_load_dword v34, s[8:11], 0 offen lds                // 000000004EF4: E0511000 80020022
	v_mfma_f32_16x16x16_bf16 v[56:59], a[110:111], a[78:79], v[56:59]// 000000004EFC: D3E10038 1CE29D6E
	s_add_u32 m0, 0x300, s45                                   // 000000004F04: 807C2DFF 00000300
	buffer_load_dword v35, s[8:11], 0 offen lds                // 000000004F0C: E0511000 80020023
	v_mfma_f32_16x16x16_bf16 v[60:63], a[104:105], a[80:81], v[60:63]// 000000004F14: D3E1003C 1CF2A168
	s_add_u32 m0, 0x400, s45                                   // 000000004F1C: 807C2DFF 00000400
	buffer_load_dword v36, s[8:11], 0 offen lds                // 000000004F24: E0511000 80020024
	v_mfma_f32_16x16x16_bf16 v[60:63], a[106:107], a[82:83], v[60:63]// 000000004F2C: D3E1003C 1CF2A56A
	s_add_u32 m0, 0x500, s45                                   // 000000004F34: 807C2DFF 00000500
	buffer_load_dword v37, s[8:11], 0 offen lds                // 000000004F3C: E0511000 80020025
	v_mfma_f32_16x16x16_bf16 v[60:63], a[108:109], a[84:85], v[60:63]// 000000004F44: D3E1003C 1CF2A96C
	s_add_u32 m0, 0x600, s45                                   // 000000004F4C: 807C2DFF 00000600
	buffer_load_dword v38, s[8:11], 0 offen lds                // 000000004F54: E0511000 80020026
	v_mfma_f32_16x16x16_bf16 v[60:63], a[110:111], a[86:87], v[60:63]// 000000004F5C: D3E1003C 1CF2AD6E
	s_add_u32 m0, 0x700, s45                                   // 000000004F64: 807C2DFF 00000700
	buffer_load_dword v39, s[8:11], 0 offen lds                // 000000004F6C: E0511000 80020027
	v_mfma_f32_16x16x16_bf16 v[64:67], a[104:105], a[88:89], v[64:67]// 000000004F74: D3E10040 1D02B168
	s_add_u32 s31, 0x100, s33                                  // 000000004F7C: 801F21FF 00000100
	s_cmp_lt_u32 s31, s34                                      // 000000004F84: BF0A221F
	s_cselect_b32 s41, s41, 0                                  // 000000004F88: 85298029
	s_add_u32 s8, s41, s8                                      // 000000004F8C: 80080829
	s_addc_u32 s9, 0, s9                                       // 000000004F90: 82090980
	v_mfma_f32_16x16x16_bf16 v[64:67], a[106:107], a[90:91], v[64:67]// 000000004F94: D3E10040 1D02B56A
	v_mfma_f32_16x16x16_bf16 v[64:67], a[108:109], a[92:93], v[64:67]// 000000004F9C: D3E10040 1D02B96C
	v_mfma_f32_16x16x16_bf16 v[64:67], a[110:111], a[94:95], v[64:67]// 000000004FA4: D3E10040 1D02BD6E
	s_addk_i32 s33, 0x40                                       // 000000004FAC: B7210040
	s_cmp_lt_i32 s33, s34                                      // 000000004FB0: BF042221
	s_cbranch_scc0 label_0B05                                  // 000000004FB4: BF840157
	s_waitcnt vmcnt(20) lgkmcnt(0)                             // 000000004FB8: BF8C4074
	s_barrier                                                  // 000000004FBC: BF8A0000
	v_mfma_f32_16x16x16_bf16 v[44:47], a[96:97], a[0:1], v[44:47]// 000000004FC0: D3E1002C 1CB20160
	s_add_u32 m0, 0, s43                                       // 000000004FC8: 807C2B80
	buffer_load_dword v19, s[4:7], 0 offen lds                 // 000000004FCC: E0511000 80010013
	ds_read_b128 a[48:51], v31 offset:24832                    // 000000004FD4: DBFE6100 3000001F
	ds_read_b128 a[52:55], v31 offset:24896                    // 000000004FDC: DBFE6140 3400001F
	v_mfma_f32_16x16x16_bf16 v[44:47], a[98:99], a[2:3], v[44:47]// 000000004FE4: D3E1002C 1CB20562
	s_add_u32 m0, 0x100, s43                                   // 000000004FEC: 807C2BFF 00000100
	buffer_load_dword v20, s[4:7], 0 offen lds                 // 000000004FF4: E0511000 80010014
	v_mfma_f32_16x16x16_bf16 v[44:47], a[100:101], a[4:5], v[44:47]// 000000004FFC: D3E1002C 1CB20964
	s_add_u32 m0, 0x200, s43                                   // 000000005004: 807C2BFF 00000200
	buffer_load_dword v21, s[4:7], 0 offen lds                 // 00000000500C: E0511000 80010015
	ds_read_b128 a[56:59], v31 offset:25344                    // 000000005014: DBFE6300 3800001F
	ds_read_b128 a[60:63], v31 offset:25408                    // 00000000501C: DBFE6340 3C00001F
	v_mfma_f32_16x16x16_bf16 v[44:47], a[102:103], a[6:7], v[44:47]// 000000005024: D3E1002C 1CB20D66
	s_add_u32 m0, 0x300, s43                                   // 00000000502C: 807C2BFF 00000300
	buffer_load_dword v22, s[4:7], 0 offen lds                 // 000000005034: E0511000 80010016
	v_mfma_f32_16x16x16_bf16 v[48:51], a[96:97], a[8:9], v[48:51]// 00000000503C: D3E10030 1CC21160
	s_add_u32 m0, 0x400, s43                                   // 000000005044: 807C2BFF 00000400
	buffer_load_dword v23, s[4:7], 0 offen lds                 // 00000000504C: E0511000 80010017
	ds_read_b128 a[64:67], v31 offset:25856                    // 000000005054: DBFE6500 4000001F
	ds_read_b128 a[68:71], v31 offset:25920                    // 00000000505C: DBFE6540 4400001F
	v_mfma_f32_16x16x16_bf16 v[48:51], a[98:99], a[10:11], v[48:51]// 000000005064: D3E10030 1CC21562
	s_add_u32 m0, 0x500, s43                                   // 00000000506C: 807C2BFF 00000500
	buffer_load_dword v24, s[4:7], 0 offen lds                 // 000000005074: E0511000 80010018
	v_mfma_f32_16x16x16_bf16 v[48:51], a[100:101], a[12:13], v[48:51]// 00000000507C: D3E10030 1CC21964
	s_add_u32 m0, 0x600, s43                                   // 000000005084: 807C2BFF 00000600
	buffer_load_dword v25, s[4:7], 0 offen lds                 // 00000000508C: E0511000 80010019
	ds_read_b128 a[72:75], v31 offset:26368                    // 000000005094: DBFE6700 4800001F
	ds_read_b128 a[76:79], v31 offset:26432                    // 00000000509C: DBFE6740 4C00001F
	v_mfma_f32_16x16x16_bf16 v[48:51], a[102:103], a[14:15], v[48:51]// 0000000050A4: D3E10030 1CC21D66
	s_add_u32 m0, 0x700, s43                                   // 0000000050AC: 807C2BFF 00000700
	buffer_load_dword v26, s[4:7], 0 offen lds                 // 0000000050B4: E0511000 8001001A
	v_mfma_f32_16x16x16_bf16 v[52:55], a[96:97], a[16:17], v[52:55]// 0000000050BC: D3E10034 1CD22160
	s_add_u32 m0, 0x800, s43                                   // 0000000050C4: 807C2BFF 00000800
	buffer_load_dword v27, s[4:7], 0 offen lds                 // 0000000050CC: E0511000 8001001B
	ds_read_b128 a[80:83], v31 offset:26880                    // 0000000050D4: DBFE6900 5000001F
	ds_read_b128 a[84:87], v31 offset:26944                    // 0000000050DC: DBFE6940 5400001F
	v_mfma_f32_16x16x16_bf16 v[52:55], a[98:99], a[18:19], v[52:55]// 0000000050E4: D3E10034 1CD22562
	s_add_u32 m0, 0x900, s43                                   // 0000000050EC: 807C2BFF 00000900
	buffer_load_dword v28, s[4:7], 0 offen lds                 // 0000000050F4: E0511000 8001001C
	v_mfma_f32_16x16x16_bf16 v[52:55], a[100:101], a[20:21], v[52:55]// 0000000050FC: D3E10034 1CD22964
	s_add_u32 m0, 0xa00, s43                                   // 000000005104: 807C2BFF 00000A00
	buffer_load_dword v29, s[4:7], 0 offen lds                 // 00000000510C: E0511000 8001001D
	ds_read_b128 a[88:91], v31 offset:27392                    // 000000005114: DBFE6B00 5800001F
	ds_read_b128 a[92:95], v31 offset:27456                    // 00000000511C: DBFE6B40 5C00001F
	v_mfma_f32_16x16x16_bf16 v[52:55], a[102:103], a[22:23], v[52:55]// 000000005124: D3E10034 1CD22D66
	s_add_u32 m0, 0xb00, s43                                   // 00000000512C: 807C2BFF 00000B00
	buffer_load_dword v30, s[4:7], 0 offen lds                 // 000000005134: E0511000 8001001E
	v_mfma_f32_16x16x16_bf16 v[56:59], a[96:97], a[24:25], v[56:59]// 00000000513C: D3E10038 1CE23160
	s_add_u32 s31, 0x100, s33                                  // 000000005144: 801F21FF 00000100
	s_cmp_lt_u32 s31, s34                                      // 00000000514C: BF0A221F
	s_cselect_b32 s40, s40, 0                                  // 000000005150: 85288028
	s_add_u32 m0, 0, s46                                       // 000000005154: 807C2E80
	buffer_load_dword v32, s[8:11], 0 offen lds                // 000000005158: E0511000 80020020
	s_add_u32 s4, s40, s4                                      // 000000005160: 80040428
	s_addc_u32 s5, 0, s5                                       // 000000005164: 82050580
	ds_read_b128 a[104:107], v40 offset:53888                  // 000000005168: DBFED280 68000028
	ds_read_b128 a[108:111], v40 offset:53952                  // 000000005170: DBFED2C0 6C000028
	v_mfma_f32_16x16x16_bf16 v[56:59], a[98:99], a[26:27], v[56:59]// 000000005178: D3E10038 1CE23562
	s_add_u32 m0, 0x100, s46                                   // 000000005180: 807C2EFF 00000100
	buffer_load_dword v33, s[8:11], 0 offen lds                // 000000005188: E0511000 80020021
	v_mfma_f32_16x16x16_bf16 v[56:59], a[100:101], a[28:29], v[56:59]// 000000005190: D3E10038 1CE23964
	s_add_u32 m0, 0x200, s46                                   // 000000005198: 807C2EFF 00000200
	buffer_load_dword v34, s[8:11], 0 offen lds                // 0000000051A0: E0511000 80020022
	v_mfma_f32_16x16x16_bf16 v[56:59], a[102:103], a[30:31], v[56:59]// 0000000051A8: D3E10038 1CE23D66
	s_add_u32 m0, 0x300, s46                                   // 0000000051B0: 807C2EFF 00000300
	buffer_load_dword v35, s[8:11], 0 offen lds                // 0000000051B8: E0511000 80020023
	v_mfma_f32_16x16x16_bf16 v[60:63], a[96:97], a[32:33], v[60:63]// 0000000051C0: D3E1003C 1CF24160
	s_add_u32 m0, 0x400, s46                                   // 0000000051C8: 807C2EFF 00000400
	buffer_load_dword v36, s[8:11], 0 offen lds                // 0000000051D0: E0511000 80020024
	v_mfma_f32_16x16x16_bf16 v[60:63], a[98:99], a[34:35], v[60:63]// 0000000051D8: D3E1003C 1CF24562
	s_add_u32 m0, 0x500, s46                                   // 0000000051E0: 807C2EFF 00000500
	buffer_load_dword v37, s[8:11], 0 offen lds                // 0000000051E8: E0511000 80020025
	v_mfma_f32_16x16x16_bf16 v[60:63], a[100:101], a[36:37], v[60:63]// 0000000051F0: D3E1003C 1CF24964
	s_add_u32 m0, 0x600, s46                                   // 0000000051F8: 807C2EFF 00000600
	buffer_load_dword v38, s[8:11], 0 offen lds                // 000000005200: E0511000 80020026
	v_mfma_f32_16x16x16_bf16 v[60:63], a[102:103], a[38:39], v[60:63]// 000000005208: D3E1003C 1CF24D66
	s_add_u32 m0, 0x700, s46                                   // 000000005210: 807C2EFF 00000700
	buffer_load_dword v39, s[8:11], 0 offen lds                // 000000005218: E0511000 80020027
	v_mfma_f32_16x16x16_bf16 v[64:67], a[96:97], a[40:41], v[64:67]// 000000005220: D3E10040 1D025160
	s_add_u32 s31, 0x100, s33                                  // 000000005228: 801F21FF 00000100
	s_cmp_lt_u32 s31, s34                                      // 000000005230: BF0A221F
	s_cselect_b32 s41, s41, 0                                  // 000000005234: 85298029
	s_add_u32 s8, s41, s8                                      // 000000005238: 80080829
	s_addc_u32 s9, 0, s9                                       // 00000000523C: 82090980
	v_mfma_f32_16x16x16_bf16 v[64:67], a[98:99], a[42:43], v[64:67]// 000000005240: D3E10040 1D025562
	v_mfma_f32_16x16x16_bf16 v[64:67], a[100:101], a[44:45], v[64:67]// 000000005248: D3E10040 1D025964
	v_mfma_f32_16x16x16_bf16 v[64:67], a[102:103], a[46:47], v[64:67]// 000000005250: D3E10040 1D025D66
	s_addk_i32 s33, 0x40                                       // 000000005258: B7210040
	s_cmp_lt_i32 s33, s34                                      // 00000000525C: BF042221
	s_cbranch_scc0 label_0B05                                  // 000000005260: BF8400AC
	s_waitcnt vmcnt(20) lgkmcnt(0)                             // 000000005264: BF8C4074
	s_barrier                                                  // 000000005268: BF8A0000
	v_mfma_f32_16x16x16_bf16 v[44:47], a[104:105], a[48:49], v[44:47]// 00000000526C: D3E1002C 1CB26168
	s_add_u32 m0, 0, s44                                       // 000000005274: 807C2C80
	buffer_load_dword v19, s[4:7], 0 offen lds                 // 000000005278: E0511000 80010013
	ds_read_b128 a[0:3], v31                                   // 000000005280: DBFE0000 0000001F
	ds_read_b128 a[4:7], v31 offset:64                         // 000000005288: DBFE0040 0400001F
	v_mfma_f32_16x16x16_bf16 v[44:47], a[106:107], a[50:51], v[44:47]// 000000005290: D3E1002C 1CB2656A
	s_add_u32 m0, 0x100, s44                                   // 000000005298: 807C2CFF 00000100
	buffer_load_dword v20, s[4:7], 0 offen lds                 // 0000000052A0: E0511000 80010014
	v_mfma_f32_16x16x16_bf16 v[44:47], a[108:109], a[52:53], v[44:47]// 0000000052A8: D3E1002C 1CB2696C
	s_add_u32 m0, 0x200, s44                                   // 0000000052B0: 807C2CFF 00000200
	buffer_load_dword v21, s[4:7], 0 offen lds                 // 0000000052B8: E0511000 80010015
	ds_read_b128 a[8:11], v31 offset:512                       // 0000000052C0: DBFE0200 0800001F
	ds_read_b128 a[12:15], v31 offset:576                      // 0000000052C8: DBFE0240 0C00001F
	v_mfma_f32_16x16x16_bf16 v[44:47], a[110:111], a[54:55], v[44:47]// 0000000052D0: D3E1002C 1CB26D6E
	s_add_u32 m0, 0x300, s44                                   // 0000000052D8: 807C2CFF 00000300
	buffer_load_dword v22, s[4:7], 0 offen lds                 // 0000000052E0: E0511000 80010016
	v_mfma_f32_16x16x16_bf16 v[48:51], a[104:105], a[56:57], v[48:51]// 0000000052E8: D3E10030 1CC27168
	s_add_u32 m0, 0x400, s44                                   // 0000000052F0: 807C2CFF 00000400
	buffer_load_dword v23, s[4:7], 0 offen lds                 // 0000000052F8: E0511000 80010017
	ds_read_b128 a[16:19], v31 offset:1024                     // 000000005300: DBFE0400 1000001F
	ds_read_b128 a[20:23], v31 offset:1088                     // 000000005308: DBFE0440 1400001F
	v_mfma_f32_16x16x16_bf16 v[48:51], a[106:107], a[58:59], v[48:51]// 000000005310: D3E10030 1CC2756A
	s_add_u32 m0, 0x500, s44                                   // 000000005318: 807C2CFF 00000500
	buffer_load_dword v24, s[4:7], 0 offen lds                 // 000000005320: E0511000 80010018
	v_mfma_f32_16x16x16_bf16 v[48:51], a[108:109], a[60:61], v[48:51]// 000000005328: D3E10030 1CC2796C
	s_add_u32 m0, 0x600, s44                                   // 000000005330: 807C2CFF 00000600
	buffer_load_dword v25, s[4:7], 0 offen lds                 // 000000005338: E0511000 80010019
	ds_read_b128 a[24:27], v31 offset:1536                     // 000000005340: DBFE0600 1800001F
	ds_read_b128 a[28:31], v31 offset:1600                     // 000000005348: DBFE0640 1C00001F
	v_mfma_f32_16x16x16_bf16 v[48:51], a[110:111], a[62:63], v[48:51]// 000000005350: D3E10030 1CC27D6E
	s_add_u32 m0, 0x700, s44                                   // 000000005358: 807C2CFF 00000700
	buffer_load_dword v26, s[4:7], 0 offen lds                 // 000000005360: E0511000 8001001A
	v_mfma_f32_16x16x16_bf16 v[52:55], a[104:105], a[64:65], v[52:55]// 000000005368: D3E10034 1CD28168
	s_add_u32 m0, 0x800, s44                                   // 000000005370: 807C2CFF 00000800
	buffer_load_dword v27, s[4:7], 0 offen lds                 // 000000005378: E0511000 8001001B
	ds_read_b128 a[32:35], v31 offset:2048                     // 000000005380: DBFE0800 2000001F
	ds_read_b128 a[36:39], v31 offset:2112                     // 000000005388: DBFE0840 2400001F
	v_mfma_f32_16x16x16_bf16 v[52:55], a[106:107], a[66:67], v[52:55]// 000000005390: D3E10034 1CD2856A
	s_add_u32 m0, 0x900, s44                                   // 000000005398: 807C2CFF 00000900
	buffer_load_dword v28, s[4:7], 0 offen lds                 // 0000000053A0: E0511000 8001001C
	v_mfma_f32_16x16x16_bf16 v[52:55], a[108:109], a[68:69], v[52:55]// 0000000053A8: D3E10034 1CD2896C
	s_add_u32 m0, 0xa00, s44                                   // 0000000053B0: 807C2CFF 00000A00
	buffer_load_dword v29, s[4:7], 0 offen lds                 // 0000000053B8: E0511000 8001001D
	ds_read_b128 a[40:43], v31 offset:2560                     // 0000000053C0: DBFE0A00 2800001F
	ds_read_b128 a[44:47], v31 offset:2624                     // 0000000053C8: DBFE0A40 2C00001F
	v_mfma_f32_16x16x16_bf16 v[52:55], a[110:111], a[70:71], v[52:55]// 0000000053D0: D3E10034 1CD28D6E
	s_add_u32 m0, 0xb00, s44                                   // 0000000053D8: 807C2CFF 00000B00
	buffer_load_dword v30, s[4:7], 0 offen lds                 // 0000000053E0: E0511000 8001001E
	v_mfma_f32_16x16x16_bf16 v[56:59], a[104:105], a[72:73], v[56:59]// 0000000053E8: D3E10038 1CE29168
	s_add_u32 s31, 0x100, s33                                  // 0000000053F0: 801F21FF 00000100
	s_cmp_lt_u32 s31, s34                                      // 0000000053F8: BF0A221F
	s_cselect_b32 s40, s40, 0                                  // 0000000053FC: 85288028
	s_add_u32 m0, 0, s47                                       // 000000005400: 807C2F80
	buffer_load_dword v32, s[8:11], 0 offen lds                // 000000005404: E0511000 80020020
	s_add_u32 s4, s40, s4                                      // 00000000540C: 80040428
	s_addc_u32 s5, 0, s5                                       // 000000005410: 82050580
	ds_read_b128 a[96:99], v40 offset:37248                    // 000000005414: DBFE9180 60000028
	ds_read_b128 a[100:103], v40 offset:37312                  // 00000000541C: DBFE91C0 64000028
	v_mfma_f32_16x16x16_bf16 v[56:59], a[106:107], a[74:75], v[56:59]// 000000005424: D3E10038 1CE2956A
	s_add_u32 m0, 0x100, s47                                   // 00000000542C: 807C2FFF 00000100
	buffer_load_dword v33, s[8:11], 0 offen lds                // 000000005434: E0511000 80020021
	v_mfma_f32_16x16x16_bf16 v[56:59], a[108:109], a[76:77], v[56:59]// 00000000543C: D3E10038 1CE2996C
	s_add_u32 m0, 0x200, s47                                   // 000000005444: 807C2FFF 00000200
	buffer_load_dword v34, s[8:11], 0 offen lds                // 00000000544C: E0511000 80020022
	v_mfma_f32_16x16x16_bf16 v[56:59], a[110:111], a[78:79], v[56:59]// 000000005454: D3E10038 1CE29D6E
	s_add_u32 m0, 0x300, s47                                   // 00000000545C: 807C2FFF 00000300
	buffer_load_dword v35, s[8:11], 0 offen lds                // 000000005464: E0511000 80020023
	v_mfma_f32_16x16x16_bf16 v[60:63], a[104:105], a[80:81], v[60:63]// 00000000546C: D3E1003C 1CF2A168
	s_add_u32 m0, 0x400, s47                                   // 000000005474: 807C2FFF 00000400
	buffer_load_dword v36, s[8:11], 0 offen lds                // 00000000547C: E0511000 80020024
	v_mfma_f32_16x16x16_bf16 v[60:63], a[106:107], a[82:83], v[60:63]// 000000005484: D3E1003C 1CF2A56A
	s_add_u32 m0, 0x500, s47                                   // 00000000548C: 807C2FFF 00000500
	buffer_load_dword v37, s[8:11], 0 offen lds                // 000000005494: E0511000 80020025
	v_mfma_f32_16x16x16_bf16 v[60:63], a[108:109], a[84:85], v[60:63]// 00000000549C: D3E1003C 1CF2A96C
	s_add_u32 m0, 0x600, s47                                   // 0000000054A4: 807C2FFF 00000600
	buffer_load_dword v38, s[8:11], 0 offen lds                // 0000000054AC: E0511000 80020026
	v_mfma_f32_16x16x16_bf16 v[60:63], a[110:111], a[86:87], v[60:63]// 0000000054B4: D3E1003C 1CF2AD6E
	s_add_u32 m0, 0x700, s47                                   // 0000000054BC: 807C2FFF 00000700
	buffer_load_dword v39, s[8:11], 0 offen lds                // 0000000054C4: E0511000 80020027
	v_mfma_f32_16x16x16_bf16 v[64:67], a[104:105], a[88:89], v[64:67]// 0000000054CC: D3E10040 1D02B168
	s_add_u32 s31, 0x100, s33                                  // 0000000054D4: 801F21FF 00000100
	s_cmp_lt_u32 s31, s34                                      // 0000000054DC: BF0A221F
	s_cselect_b32 s41, s41, 0                                  // 0000000054E0: 85298029
	s_add_u32 s8, s41, s8                                      // 0000000054E4: 80080829
	s_addc_u32 s9, 0, s9                                       // 0000000054E8: 82090980
	v_mfma_f32_16x16x16_bf16 v[64:67], a[106:107], a[90:91], v[64:67]// 0000000054EC: D3E10040 1D02B56A
	v_mfma_f32_16x16x16_bf16 v[64:67], a[108:109], a[92:93], v[64:67]// 0000000054F4: D3E10040 1D02B96C
	v_mfma_f32_16x16x16_bf16 v[64:67], a[110:111], a[94:95], v[64:67]// 0000000054FC: D3E10040 1D02BD6E
	s_addk_i32 s33, 0x40                                       // 000000005504: B7210040
	s_cmp_lt_i32 s33, s34                                      // 000000005508: BF042221
	s_cbranch_scc0 label_0B05                                  // 00000000550C: BF840001
	s_branch label_0702                                        // 000000005510: BF82FBFD

0000000000005514 <label_0B05>:
	s_cmp_le_u32 s48, 1                                        // 000000005514: BF0B8130
	s_cbranch_scc1 label_0FD5                                  // 000000005518: BF8504CE
	s_mov_b32 s31, 0x60                                        // 00000000551C: BE9F00FF 00000060
	s_cmp_lt_u32 s51, s31                                      // 000000005524: BF0A1F33
	s_cbranch_scc1 label_0CE0                                  // 000000005528: BF8501D5
	v_mov_b32_e32 v5, 0                                        // 00000000552C: 7E0A0280
	s_and_b32 s17, s17, 0xffff                                 // 000000005530: 8611FF11 0000FFFF
	s_cmp_lt_u32 s50, 1                                        // 000000005538: BF0A8132
	s_cbranch_scc0 label_0BC7                                  // 00000000553C: BF8400B7
	v_lshrrev_b32_e32 v4, 4, v0                                // 000000005540: 20080084
	v_mul_u32_u24_e32 v31, 0x44, v4                            // 000000005544: 103E08FF 00000044
	v_and_b32_e32 v4, 15, v0                                   // 00000000554C: 2608008F
	v_mul_lo_u32 v5, 4, v4                                     // 000000005550: D2850005 00020884
	v_add_u32_e32 v31, v5, v31                                 // 000000005558: 683E3F05
	s_mul_i32 s31, s24, 0x110                                  // 00000000555C: 921FFF18 00000110
	v_add_u32_e32 v31, s31, v31                                // 000000005564: 683E3E1F
	v_lshlrev_b32_e32 v31, 2, v31                              // 000000005568: 243E3E82
	v_lshrrev_b32_e32 v4, 2, v0                                // 00000000556C: 20080082
	v_mul_u32_u24_e32 v40, 0x44, v4                            // 000000005570: 105008FF 00000044
	v_and_b32_e32 v4, 3, v0                                    // 000000005578: 26080083
	v_add_u32_e32 v40, v4, v40                                 // 00000000557C: 68505104
	s_mul_i32 s31, s24, 4                                      // 000000005580: 921F8418
	v_add_u32_e32 v40, s31, v40                                // 000000005584: 6850501F
	v_lshlrev_b32_e32 v40, 2, v40                              // 000000005588: 24505082
	s_waitcnt vmcnt(0) expcnt(0) lgkmcnt(0)                    // 00000000558C: BF8C0000
	s_barrier                                                  // 000000005590: BF8A0000
	ds_write_b128 v31, v[44:47]                                // 000000005594: D9BE0000 00002C1F
	ds_write_b128 v31, v[48:51] offset:4352                    // 00000000559C: D9BE1100 0000301F
	ds_write_b128 v31, v[52:55] offset:8704                    // 0000000055A4: D9BE2200 0000341F
	ds_write_b128 v31, v[56:59] offset:13056                   // 0000000055AC: D9BE3300 0000381F
	ds_write_b128 v31, v[60:63] offset:17408                   // 0000000055B4: D9BE4400 00003C1F
	ds_write_b128 v31, v[64:67] offset:21760                   // 0000000055BC: D9BE5500 0000401F
	s_waitcnt lgkmcnt(0)                                       // 0000000055C4: BF8CC07F
	s_barrier                                                  // 0000000055C8: BF8A0000
	ds_read_b32 v44, v40                                       // 0000000055CC: D86C0000 2C000028
	ds_read_b32 v45, v40 offset:64                             // 0000000055D4: D86C0040 2D000028
	ds_read_b32 v46, v40 offset:128                            // 0000000055DC: D86C0080 2E000028
	ds_read_b32 v47, v40 offset:192                            // 0000000055E4: D86C00C0 2F000028
	ds_read_b32 v48, v40 offset:4352                           // 0000000055EC: D86C1100 30000028
	ds_read_b32 v49, v40 offset:4416                           // 0000000055F4: D86C1140 31000028
	ds_read_b32 v50, v40 offset:4480                           // 0000000055FC: D86C1180 32000028
	ds_read_b32 v51, v40 offset:4544                           // 000000005604: D86C11C0 33000028
	ds_read_b32 v52, v40 offset:8704                           // 00000000560C: D86C2200 34000028
	ds_read_b32 v53, v40 offset:8768                           // 000000005614: D86C2240 35000028
	ds_read_b32 v54, v40 offset:8832                           // 00000000561C: D86C2280 36000028
	ds_read_b32 v55, v40 offset:8896                           // 000000005624: D86C22C0 37000028
	ds_read_b32 v56, v40 offset:13056                          // 00000000562C: D86C3300 38000028
	ds_read_b32 v57, v40 offset:13120                          // 000000005634: D86C3340 39000028
	ds_read_b32 v58, v40 offset:13184                          // 00000000563C: D86C3380 3A000028
	ds_read_b32 v59, v40 offset:13248                          // 000000005644: D86C33C0 3B000028
	ds_read_b32 v60, v40 offset:17408                          // 00000000564C: D86C4400 3C000028
	ds_read_b32 v61, v40 offset:17472                          // 000000005654: D86C4440 3D000028
	ds_read_b32 v62, v40 offset:17536                          // 00000000565C: D86C4480 3E000028
	ds_read_b32 v63, v40 offset:17600                          // 000000005664: D86C44C0 3F000028
	ds_read_b32 v64, v40 offset:21760                          // 00000000566C: D86C5500 40000028
	ds_read_b32 v65, v40 offset:21824                          // 000000005674: D86C5540 41000028
	ds_read_b32 v66, v40 offset:21888                          // 00000000567C: D86C5580 42000028
	ds_read_b32 v67, v40 offset:21952                          // 000000005684: D86C55C0 43000028
	s_waitcnt lgkmcnt(0)                                       // 00000000568C: BF8CC07F
	s_mul_i32 s31, s30, 4                                      // 000000005690: 921F841E
	v_mov_b32_e32 v4, v18                                      // 000000005694: 7E080312
	global_atomic_add_f32 v4, v44, s[16:17]                    // 000000005698: DD348000 00102C04
	v_add_u32_e64 v4, v4, s31                                  // 0000000056A0: D1340004 00003F04
	global_atomic_add_f32 v4, v45, s[16:17]                    // 0000000056A8: DD348000 00102D04
	v_add_u32_e64 v4, v4, s31                                  // 0000000056B0: D1340004 00003F04
	global_atomic_add_f32 v4, v46, s[16:17]                    // 0000000056B8: DD348000 00102E04
	v_add_u32_e64 v4, v4, s31                                  // 0000000056C0: D1340004 00003F04
	global_atomic_add_f32 v4, v47, s[16:17]                    // 0000000056C8: DD348000 00102F04
	v_add_u32_e64 v4, v4, s31                                  // 0000000056D0: D1340004 00003F04
	global_atomic_add_f32 v4, v48, s[16:17]                    // 0000000056D8: DD348000 00103004
	v_add_u32_e64 v4, v4, s31                                  // 0000000056E0: D1340004 00003F04
	global_atomic_add_f32 v4, v49, s[16:17]                    // 0000000056E8: DD348000 00103104
	v_add_u32_e64 v4, v4, s31                                  // 0000000056F0: D1340004 00003F04
	global_atomic_add_f32 v4, v50, s[16:17]                    // 0000000056F8: DD348000 00103204
	v_add_u32_e64 v4, v4, s31                                  // 000000005700: D1340004 00003F04
	global_atomic_add_f32 v4, v51, s[16:17]                    // 000000005708: DD348000 00103304
	v_add_u32_e64 v4, v4, s31                                  // 000000005710: D1340004 00003F04
	global_atomic_add_f32 v4, v52, s[16:17]                    // 000000005718: DD348000 00103404
	;; [unrolled: 2-line block ×7, first 2 shown]
	v_add_u32_e64 v4, v4, s31                                  // 000000005770: D1340004 00003F04
	global_atomic_add_f32 v4, v58, s[16:17]                    // 000000005778: DD348000 00103A04
	v_add_u32_e64 v4, v4, s31                                  // 000000005780: D1340004 00003F04
	global_atomic_add_f32 v4, v59, s[16:17]                    // 000000005788: DD348000 00103B04
	v_add_u32_e64 v4, v4, s31                                  // 000000005790: D1340004 00003F04
	global_atomic_add_f32 v4, v60, s[16:17]                    // 000000005798: DD348000 00103C04
	v_add_u32_e64 v4, v4, s31                                  // 0000000057A0: D1340004 00003F04
	global_atomic_add_f32 v4, v61, s[16:17]                    // 0000000057A8: DD348000 00103D04
	v_add_u32_e64 v4, v4, s31                                  // 0000000057B0: D1340004 00003F04
	global_atomic_add_f32 v4, v62, s[16:17]                    // 0000000057B8: DD348000 00103E04
	v_add_u32_e64 v4, v4, s31                                  // 0000000057C0: D1340004 00003F04
	global_atomic_add_f32 v4, v63, s[16:17]                    // 0000000057C8: DD348000 00103F04
	v_add_u32_e64 v4, v4, s31                                  // 0000000057D0: D1340004 00003F04
	global_atomic_add_f32 v4, v64, s[16:17]                    // 0000000057D8: DD348000 00104004
	v_add_u32_e64 v4, v4, s31                                  // 0000000057E0: D1340004 00003F04
	global_atomic_add_f32 v4, v65, s[16:17]                    // 0000000057E8: DD348000 00104104
	v_add_u32_e64 v4, v4, s31                                  // 0000000057F0: D1340004 00003F04
	global_atomic_add_f32 v4, v66, s[16:17]                    // 0000000057F8: DD348000 00104204
	v_add_u32_e64 v4, v4, s31                                  // 000000005800: D1340004 00003F04
	global_atomic_add_f32 v4, v67, s[16:17]                    // 000000005808: DD348000 00104304
	v_add_u32_e64 v4, v4, s31                                  // 000000005810: D1340004 00003F04
	s_branch label_1098                                        // 000000005818: BF8204D1

000000000000581c <label_0BC7>:
	v_lshrrev_b32_e32 v4, 4, v0                                // 00000000581C: 20080084
	v_mul_u32_u24_e32 v31, 34, v4                              // 000000005820: 103E08A2
	v_and_b32_e32 v4, 15, v0                                   // 000000005824: 2608008F
	v_mul_lo_u32 v5, 2, v4                                     // 000000005828: D2850005 00020882
	v_add_u32_e32 v31, v5, v31                                 // 000000005830: 683E3F05
	s_mul_i32 s31, s24, 0x88                                   // 000000005834: 921FFF18 00000088
	v_add_u32_e32 v31, s31, v31                                // 00000000583C: 683E3E1F
	v_lshlrev_b32_e32 v31, 2, v31                              // 000000005840: 243E3E82
	v_and_b32_e32 v4, 31, v0                                   // 000000005844: 2608009F
	v_lshrrev_b32_e32 v5, 1, v4                                // 000000005848: 200A0881
	v_mul_u32_u24_e32 v40, 34, v5                              // 00000000584C: 10500AA2
	v_and_b32_e32 v5, 1, v4                                    // 000000005850: 260A0881
	v_add_u32_e32 v40, v5, v40                                 // 000000005854: 68505105
	v_lshrrev_b32_e32 v4, 5, v0                                // 000000005858: 20080085
	v_mul_u32_u24_e32 v4, 8, v4                                // 00000000585C: 10080888
	v_add_u32_e32 v40, v4, v40                                 // 000000005860: 68505104
	s_mul_i32 s31, s24, 2                                      // 000000005864: 921F8218
	v_add_u32_e32 v40, s31, v40                                // 000000005868: 6850501F
	v_lshlrev_b32_e32 v40, 2, v40                              // 00000000586C: 24505082
	s_waitcnt vmcnt(0) expcnt(0) lgkmcnt(0)                    // 000000005870: BF8C0000
	s_barrier                                                  // 000000005874: BF8A0000
	v_cmp_u_f32_e64 s[56:57], v44, v44                         // 000000005878: D0480038 0002592C
	v_add3_u32 v8, v44, v11, 1                                 // 000000005880: D1FF0008 0206172C
	v_cndmask_b32_e64 v4, v8, v10, s[56:57]                    // 000000005888: D1000004 00E21508
	v_cmp_u_f32_e64 s[56:57], v45, v45                         // 000000005890: D0480038 00025B2D
	v_add3_u32 v8, v45, v11, 1                                 // 000000005898: D1FF0008 0206172D
	v_cndmask_b32_e64 v5, v8, v10, s[56:57]                    // 0000000058A0: D1000005 00E21508
	v_perm_b32 v68, v5, v4, s35                                // 0000000058A8: D1ED0044 008E0905
	v_cmp_u_f32_e64 s[56:57], v46, v46                         // 0000000058B0: D0480038 00025D2E
	v_add3_u32 v8, v46, v11, 1                                 // 0000000058B8: D1FF0008 0206172E
	v_cndmask_b32_e64 v4, v8, v10, s[56:57]                    // 0000000058C0: D1000004 00E21508
	v_cmp_u_f32_e64 s[56:57], v47, v47                         // 0000000058C8: D0480038 00025F2F
	v_add3_u32 v8, v47, v11, 1                                 // 0000000058D0: D1FF0008 0206172F
	v_cndmask_b32_e64 v5, v8, v10, s[56:57]                    // 0000000058D8: D1000005 00E21508
	v_perm_b32 v69, v5, v4, s35                                // 0000000058E0: D1ED0045 008E0905
	v_cmp_u_f32_e64 s[56:57], v48, v48                         // 0000000058E8: D0480038 00026130
	v_add3_u32 v8, v48, v11, 1                                 // 0000000058F0: D1FF0008 02061730
	v_cndmask_b32_e64 v4, v8, v10, s[56:57]                    // 0000000058F8: D1000004 00E21508
	v_cmp_u_f32_e64 s[56:57], v49, v49                         // 000000005900: D0480038 00026331
	v_add3_u32 v8, v49, v11, 1                                 // 000000005908: D1FF0008 02061731
	v_cndmask_b32_e64 v5, v8, v10, s[56:57]                    // 000000005910: D1000005 00E21508
	v_perm_b32 v70, v5, v4, s35                                // 000000005918: D1ED0046 008E0905
	v_cmp_u_f32_e64 s[56:57], v50, v50                         // 000000005920: D0480038 00026532
	v_add3_u32 v8, v50, v11, 1                                 // 000000005928: D1FF0008 02061732
	v_cndmask_b32_e64 v4, v8, v10, s[56:57]                    // 000000005930: D1000004 00E21508
	v_cmp_u_f32_e64 s[56:57], v51, v51                         // 000000005938: D0480038 00026733
	v_add3_u32 v8, v51, v11, 1                                 // 000000005940: D1FF0008 02061733
	v_cndmask_b32_e64 v5, v8, v10, s[56:57]                    // 000000005948: D1000005 00E21508
	v_perm_b32 v71, v5, v4, s35                                // 000000005950: D1ED0047 008E0905
	v_cmp_u_f32_e64 s[56:57], v52, v52                         // 000000005958: D0480038 00026934
	v_add3_u32 v8, v52, v11, 1                                 // 000000005960: D1FF0008 02061734
	v_cndmask_b32_e64 v4, v8, v10, s[56:57]                    // 000000005968: D1000004 00E21508
	v_cmp_u_f32_e64 s[56:57], v53, v53                         // 000000005970: D0480038 00026B35
	v_add3_u32 v8, v53, v11, 1                                 // 000000005978: D1FF0008 02061735
	v_cndmask_b32_e64 v5, v8, v10, s[56:57]                    // 000000005980: D1000005 00E21508
	v_perm_b32 v72, v5, v4, s35                                // 000000005988: D1ED0048 008E0905
	v_cmp_u_f32_e64 s[56:57], v54, v54                         // 000000005990: D0480038 00026D36
	v_add3_u32 v8, v54, v11, 1                                 // 000000005998: D1FF0008 02061736
	v_cndmask_b32_e64 v4, v8, v10, s[56:57]                    // 0000000059A0: D1000004 00E21508
	v_cmp_u_f32_e64 s[56:57], v55, v55                         // 0000000059A8: D0480038 00026F37
	v_add3_u32 v8, v55, v11, 1                                 // 0000000059B0: D1FF0008 02061737
	v_cndmask_b32_e64 v5, v8, v10, s[56:57]                    // 0000000059B8: D1000005 00E21508
	v_perm_b32 v73, v5, v4, s35                                // 0000000059C0: D1ED0049 008E0905
	v_cmp_u_f32_e64 s[56:57], v56, v56                         // 0000000059C8: D0480038 00027138
	v_add3_u32 v8, v56, v11, 1                                 // 0000000059D0: D1FF0008 02061738
	v_cndmask_b32_e64 v4, v8, v10, s[56:57]                    // 0000000059D8: D1000004 00E21508
	v_cmp_u_f32_e64 s[56:57], v57, v57                         // 0000000059E0: D0480038 00027339
	v_add3_u32 v8, v57, v11, 1                                 // 0000000059E8: D1FF0008 02061739
	v_cndmask_b32_e64 v5, v8, v10, s[56:57]                    // 0000000059F0: D1000005 00E21508
	v_perm_b32 v74, v5, v4, s35                                // 0000000059F8: D1ED004A 008E0905
	v_cmp_u_f32_e64 s[56:57], v58, v58                         // 000000005A00: D0480038 0002753A
	v_add3_u32 v8, v58, v11, 1                                 // 000000005A08: D1FF0008 0206173A
	v_cndmask_b32_e64 v4, v8, v10, s[56:57]                    // 000000005A10: D1000004 00E21508
	v_cmp_u_f32_e64 s[56:57], v59, v59                         // 000000005A18: D0480038 0002773B
	v_add3_u32 v8, v59, v11, 1                                 // 000000005A20: D1FF0008 0206173B
	v_cndmask_b32_e64 v5, v8, v10, s[56:57]                    // 000000005A28: D1000005 00E21508
	v_perm_b32 v75, v5, v4, s35                                // 000000005A30: D1ED004B 008E0905
	v_cmp_u_f32_e64 s[56:57], v60, v60                         // 000000005A38: D0480038 0002793C
	v_add3_u32 v8, v60, v11, 1                                 // 000000005A40: D1FF0008 0206173C
	v_cndmask_b32_e64 v4, v8, v10, s[56:57]                    // 000000005A48: D1000004 00E21508
	v_cmp_u_f32_e64 s[56:57], v61, v61                         // 000000005A50: D0480038 00027B3D
	v_add3_u32 v8, v61, v11, 1                                 // 000000005A58: D1FF0008 0206173D
	v_cndmask_b32_e64 v5, v8, v10, s[56:57]                    // 000000005A60: D1000005 00E21508
	v_perm_b32 v76, v5, v4, s35                                // 000000005A68: D1ED004C 008E0905
	v_cmp_u_f32_e64 s[56:57], v62, v62                         // 000000005A70: D0480038 00027D3E
	v_add3_u32 v8, v62, v11, 1                                 // 000000005A78: D1FF0008 0206173E
	v_cndmask_b32_e64 v4, v8, v10, s[56:57]                    // 000000005A80: D1000004 00E21508
	v_cmp_u_f32_e64 s[56:57], v63, v63                         // 000000005A88: D0480038 00027F3F
	v_add3_u32 v8, v63, v11, 1                                 // 000000005A90: D1FF0008 0206173F
	v_cndmask_b32_e64 v5, v8, v10, s[56:57]                    // 000000005A98: D1000005 00E21508
	v_perm_b32 v77, v5, v4, s35                                // 000000005AA0: D1ED004D 008E0905
	v_cmp_u_f32_e64 s[56:57], v64, v64                         // 000000005AA8: D0480038 00028140
	v_add3_u32 v8, v64, v11, 1                                 // 000000005AB0: D1FF0008 02061740
	v_cndmask_b32_e64 v4, v8, v10, s[56:57]                    // 000000005AB8: D1000004 00E21508
	v_cmp_u_f32_e64 s[56:57], v65, v65                         // 000000005AC0: D0480038 00028341
	v_add3_u32 v8, v65, v11, 1                                 // 000000005AC8: D1FF0008 02061741
	v_cndmask_b32_e64 v5, v8, v10, s[56:57]                    // 000000005AD0: D1000005 00E21508
	v_perm_b32 v78, v5, v4, s35                                // 000000005AD8: D1ED004E 008E0905
	v_cmp_u_f32_e64 s[56:57], v66, v66                         // 000000005AE0: D0480038 00028542
	v_add3_u32 v8, v66, v11, 1                                 // 000000005AE8: D1FF0008 02061742
	v_cndmask_b32_e64 v4, v8, v10, s[56:57]                    // 000000005AF0: D1000004 00E21508
	v_cmp_u_f32_e64 s[56:57], v67, v67                         // 000000005AF8: D0480038 00028743
	v_add3_u32 v8, v67, v11, 1                                 // 000000005B00: D1FF0008 02061743
	v_cndmask_b32_e64 v5, v8, v10, s[56:57]                    // 000000005B08: D1000005 00E21508
	v_perm_b32 v79, v5, v4, s35                                // 000000005B10: D1ED004F 008E0905
	ds_write_b64 v31, v[68:69]                                 // 000000005B18: D89A0000 0000441F
	ds_write_b64 v31, v[70:71] offset:2176                     // 000000005B20: D89A0880 0000461F
	ds_write_b64 v31, v[72:73] offset:4352                     // 000000005B28: D89A1100 0000481F
	ds_write_b64 v31, v[74:75] offset:6528                     // 000000005B30: D89A1980 00004A1F
	ds_write_b64 v31, v[76:77] offset:8704                     // 000000005B38: D89A2200 00004C1F
	ds_write_b64 v31, v[78:79] offset:10880                    // 000000005B40: D89A2A80 00004E1F
	s_waitcnt lgkmcnt(0)                                       // 000000005B48: BF8CC07F
	s_barrier                                                  // 000000005B4C: BF8A0000
	ds_read_b32 v68, v40                                       // 000000005B50: D86C0000 44000028
	ds_read_b32 v69, v40 offset:64                             // 000000005B58: D86C0040 45000028
	ds_read_b32 v70, v40 offset:2176                           // 000000005B60: D86C0880 46000028
	ds_read_b32 v71, v40 offset:2240                           // 000000005B68: D86C08C0 47000028
	ds_read_b32 v72, v40 offset:4352                           // 000000005B70: D86C1100 48000028
	ds_read_b32 v73, v40 offset:4416                           // 000000005B78: D86C1140 49000028
	ds_read_b32 v74, v40 offset:6528                           // 000000005B80: D86C1980 4A000028
	ds_read_b32 v75, v40 offset:6592                           // 000000005B88: D86C19C0 4B000028
	ds_read_b32 v76, v40 offset:8704                           // 000000005B90: D86C2200 4C000028
	ds_read_b32 v77, v40 offset:8768                           // 000000005B98: D86C2240 4D000028
	ds_read_b32 v78, v40 offset:10880                          // 000000005BA0: D86C2A80 4E000028
	ds_read_b32 v79, v40 offset:10944                          // 000000005BA8: D86C2AC0 4F000028
	s_waitcnt lgkmcnt(0)                                       // 000000005BB0: BF8CC07F
	s_mul_i32 s31, s30, 8                                      // 000000005BB4: 921F881E
	v_mov_b32_e32 v4, v18                                      // 000000005BB8: 7E080312
	global_atomic_pk_add_bf16 v4, v68, s[16:17]                // 000000005BBC: DD488000 00104404
	v_add_u32_e64 v4, v4, s31                                  // 000000005BC4: D1340004 00003F04
	global_atomic_pk_add_bf16 v4, v69, s[16:17]                // 000000005BCC: DD488000 00104504
	v_add_u32_e64 v4, v4, s31                                  // 000000005BD4: D1340004 00003F04
	global_atomic_pk_add_bf16 v4, v70, s[16:17]                // 000000005BDC: DD488000 00104604
	v_add_u32_e64 v4, v4, s31                                  // 000000005BE4: D1340004 00003F04
	global_atomic_pk_add_bf16 v4, v71, s[16:17]                // 000000005BEC: DD488000 00104704
	v_add_u32_e64 v4, v4, s31                                  // 000000005BF4: D1340004 00003F04
	global_atomic_pk_add_bf16 v4, v72, s[16:17]                // 000000005BFC: DD488000 00104804
	v_add_u32_e64 v4, v4, s31                                  // 000000005C04: D1340004 00003F04
	global_atomic_pk_add_bf16 v4, v73, s[16:17]                // 000000005C0C: DD488000 00104904
	v_add_u32_e64 v4, v4, s31                                  // 000000005C14: D1340004 00003F04
	global_atomic_pk_add_bf16 v4, v74, s[16:17]                // 000000005C1C: DD488000 00104A04
	v_add_u32_e64 v4, v4, s31                                  // 000000005C24: D1340004 00003F04
	global_atomic_pk_add_bf16 v4, v75, s[16:17]                // 000000005C2C: DD488000 00104B04
	v_add_u32_e64 v4, v4, s31                                  // 000000005C34: D1340004 00003F04
	global_atomic_pk_add_bf16 v4, v76, s[16:17]                // 000000005C3C: DD488000 00104C04
	v_add_u32_e64 v4, v4, s31                                  // 000000005C44: D1340004 00003F04
	global_atomic_pk_add_bf16 v4, v77, s[16:17]                // 000000005C4C: DD488000 00104D04
	v_add_u32_e64 v4, v4, s31                                  // 000000005C54: D1340004 00003F04
	global_atomic_pk_add_bf16 v4, v78, s[16:17]                // 000000005C5C: DD488000 00104E04
	v_add_u32_e64 v4, v4, s31                                  // 000000005C64: D1340004 00003F04
	global_atomic_pk_add_bf16 v4, v79, s[16:17]                // 000000005C6C: DD488000 00104F04
	v_add_u32_e64 v4, v4, s31                                  // 000000005C74: D1340004 00003F04
	s_branch label_1098                                        // 000000005C7C: BF8203B8

0000000000005c80 <label_0CE0>:
	v_mov_b32_e32 v5, 0                                        // 000000005C80: 7E0A0280
	s_and_b32 s17, s17, 0xffff                                 // 000000005C84: 8611FF11 0000FFFF
	s_cmp_lt_u32 s50, 1                                        // 000000005C8C: BF0A8132
	s_cbranch_scc0 label_0DEA                                  // 000000005C90: BF840105
	v_lshrrev_b32_e32 v4, 4, v0                                // 000000005C94: 20080084
	v_mul_u32_u24_e32 v31, 0x44, v4                            // 000000005C98: 103E08FF 00000044
	v_and_b32_e32 v4, 15, v0                                   // 000000005CA0: 2608008F
	v_mul_lo_u32 v5, 4, v4                                     // 000000005CA4: D2850005 00020884
	v_add_u32_e32 v31, v5, v31                                 // 000000005CAC: 683E3F05
	s_mul_i32 s31, s24, 0x110                                  // 000000005CB0: 921FFF18 00000110
	v_add_u32_e32 v31, s31, v31                                // 000000005CB8: 683E3E1F
	v_lshlrev_b32_e32 v31, 2, v31                              // 000000005CBC: 243E3E82
	v_lshrrev_b32_e32 v4, 2, v0                                // 000000005CC0: 20080082
	v_mul_u32_u24_e32 v40, 0x44, v4                            // 000000005CC4: 105008FF 00000044
	v_and_b32_e32 v4, 3, v0                                    // 000000005CCC: 26080083
	v_add_u32_e32 v40, v4, v40                                 // 000000005CD0: 68505104
	s_mul_i32 s31, s24, 4                                      // 000000005CD4: 921F8418
	v_add_u32_e32 v40, s31, v40                                // 000000005CD8: 6850501F
	v_lshlrev_b32_e32 v40, 2, v40                              // 000000005CDC: 24505082
	s_lshr_b32 s31, s51, 2                                     // 000000005CE0: 8F1F8233
	s_and_b32 s32, s51, 3                                      // 000000005CE4: 86208333
	s_cmp_lt_u32 s24, s32                                      // 000000005CE8: BF0A2018
	s_cselect_b32 s32, 1, 0                                    // 000000005CEC: 85208081
	s_add_u32 s51, s31, s32                                    // 000000005CF0: 8033201F
	s_mov_b32 s33, 0                                           // 000000005CF4: BEA10080
	s_waitcnt vmcnt(0) expcnt(0) lgkmcnt(0)                    // 000000005CF8: BF8C0000
	s_barrier                                                  // 000000005CFC: BF8A0000
	ds_write_b128 v31, v[44:47]                                // 000000005D00: D9BE0000 00002C1F
	ds_write_b128 v31, v[48:51] offset:4352                    // 000000005D08: D9BE1100 0000301F
	ds_write_b128 v31, v[52:55] offset:8704                    // 000000005D10: D9BE2200 0000341F
	ds_write_b128 v31, v[56:59] offset:13056                   // 000000005D18: D9BE3300 0000381F
	ds_write_b128 v31, v[60:63] offset:17408                   // 000000005D20: D9BE4400 00003C1F
	ds_write_b128 v31, v[64:67] offset:21760                   // 000000005D28: D9BE5500 0000401F
	s_waitcnt lgkmcnt(0)                                       // 000000005D30: BF8CC07F
	s_barrier                                                  // 000000005D34: BF8A0000
	ds_read_b32 v44, v40                                       // 000000005D38: D86C0000 2C000028
	ds_read_b32 v45, v40 offset:64                             // 000000005D40: D86C0040 2D000028
	ds_read_b32 v46, v40 offset:128                            // 000000005D48: D86C0080 2E000028
	ds_read_b32 v47, v40 offset:192                            // 000000005D50: D86C00C0 2F000028
	ds_read_b32 v48, v40 offset:4352                           // 000000005D58: D86C1100 30000028
	ds_read_b32 v49, v40 offset:4416                           // 000000005D60: D86C1140 31000028
	ds_read_b32 v50, v40 offset:4480                           // 000000005D68: D86C1180 32000028
	ds_read_b32 v51, v40 offset:4544                           // 000000005D70: D86C11C0 33000028
	ds_read_b32 v52, v40 offset:8704                           // 000000005D78: D86C2200 34000028
	ds_read_b32 v53, v40 offset:8768                           // 000000005D80: D86C2240 35000028
	ds_read_b32 v54, v40 offset:8832                           // 000000005D88: D86C2280 36000028
	ds_read_b32 v55, v40 offset:8896                           // 000000005D90: D86C22C0 37000028
	ds_read_b32 v56, v40 offset:13056                          // 000000005D98: D86C3300 38000028
	ds_read_b32 v57, v40 offset:13120                          // 000000005DA0: D86C3340 39000028
	ds_read_b32 v58, v40 offset:13184                          // 000000005DA8: D86C3380 3A000028
	ds_read_b32 v59, v40 offset:13248                          // 000000005DB0: D86C33C0 3B000028
	ds_read_b32 v60, v40 offset:17408                          // 000000005DB8: D86C4400 3C000028
	ds_read_b32 v61, v40 offset:17472                          // 000000005DC0: D86C4440 3D000028
	ds_read_b32 v62, v40 offset:17536                          // 000000005DC8: D86C4480 3E000028
	ds_read_b32 v63, v40 offset:17600                          // 000000005DD0: D86C44C0 3F000028
	ds_read_b32 v64, v40 offset:21760                          // 000000005DD8: D86C5500 40000028
	ds_read_b32 v65, v40 offset:21824                          // 000000005DE0: D86C5540 41000028
	ds_read_b32 v66, v40 offset:21888                          // 000000005DE8: D86C5580 42000028
	ds_read_b32 v67, v40 offset:21952                          // 000000005DF0: D86C55C0 43000028
	s_waitcnt lgkmcnt(0)                                       // 000000005DF8: BF8CC07F
	s_mul_i32 s31, s30, 4                                      // 000000005DFC: 921F841E
	v_mov_b32_e32 v4, v18                                      // 000000005E00: 7E080312
	s_cmp_lt_i32 s33, s51                                      // 000000005E04: BF043321
	s_cbranch_scc0 label_1098                                  // 000000005E08: BF840355
	global_atomic_add_f32 v4, v44, s[16:17]                    // 000000005E0C: DD348000 00102C04
	v_add_u32_e64 v4, v4, s31                                  // 000000005E14: D1340004 00003F04
	s_addk_i32 s33, 0x1                                        // 000000005E1C: B7210001
	s_cmp_lt_i32 s33, s51                                      // 000000005E20: BF043321
	s_cbranch_scc0 label_1098                                  // 000000005E24: BF84034E
	global_atomic_add_f32 v4, v45, s[16:17]                    // 000000005E28: DD348000 00102D04
	v_add_u32_e64 v4, v4, s31                                  // 000000005E30: D1340004 00003F04
	s_addk_i32 s33, 0x1                                        // 000000005E38: B7210001
	s_cmp_lt_i32 s33, s51                                      // 000000005E3C: BF043321
	s_cbranch_scc0 label_1098                                  // 000000005E40: BF840347
	global_atomic_add_f32 v4, v46, s[16:17]                    // 000000005E44: DD348000 00102E04
	v_add_u32_e64 v4, v4, s31                                  // 000000005E4C: D1340004 00003F04
	s_addk_i32 s33, 0x1                                        // 000000005E54: B7210001
	s_cmp_lt_i32 s33, s51                                      // 000000005E58: BF043321
	s_cbranch_scc0 label_1098                                  // 000000005E5C: BF840340
	global_atomic_add_f32 v4, v47, s[16:17]                    // 000000005E60: DD348000 00102F04
	v_add_u32_e64 v4, v4, s31                                  // 000000005E68: D1340004 00003F04
	s_addk_i32 s33, 0x1                                        // 000000005E70: B7210001
	s_cmp_lt_i32 s33, s51                                      // 000000005E74: BF043321
	s_cbranch_scc0 label_1098                                  // 000000005E78: BF840339
	global_atomic_add_f32 v4, v48, s[16:17]                    // 000000005E7C: DD348000 00103004
	v_add_u32_e64 v4, v4, s31                                  // 000000005E84: D1340004 00003F04
	s_addk_i32 s33, 0x1                                        // 000000005E8C: B7210001
	s_cmp_lt_i32 s33, s51                                      // 000000005E90: BF043321
	s_cbranch_scc0 label_1098                                  // 000000005E94: BF840332
	global_atomic_add_f32 v4, v49, s[16:17]                    // 000000005E98: DD348000 00103104
	v_add_u32_e64 v4, v4, s31                                  // 000000005EA0: D1340004 00003F04
	s_addk_i32 s33, 0x1                                        // 000000005EA8: B7210001
	s_cmp_lt_i32 s33, s51                                      // 000000005EAC: BF043321
	s_cbranch_scc0 label_1098                                  // 000000005EB0: BF84032B
	global_atomic_add_f32 v4, v50, s[16:17]                    // 000000005EB4: DD348000 00103204
	v_add_u32_e64 v4, v4, s31                                  // 000000005EBC: D1340004 00003F04
	s_addk_i32 s33, 0x1                                        // 000000005EC4: B7210001
	s_cmp_lt_i32 s33, s51                                      // 000000005EC8: BF043321
	s_cbranch_scc0 label_1098                                  // 000000005ECC: BF840324
	global_atomic_add_f32 v4, v51, s[16:17]                    // 000000005ED0: DD348000 00103304
	v_add_u32_e64 v4, v4, s31                                  // 000000005ED8: D1340004 00003F04
	s_addk_i32 s33, 0x1                                        // 000000005EE0: B7210001
	s_cmp_lt_i32 s33, s51                                      // 000000005EE4: BF043321
	s_cbranch_scc0 label_1098                                  // 000000005EE8: BF84031D
	global_atomic_add_f32 v4, v52, s[16:17]                    // 000000005EEC: DD348000 00103404
	v_add_u32_e64 v4, v4, s31                                  // 000000005EF4: D1340004 00003F04
	s_addk_i32 s33, 0x1                                        // 000000005EFC: B7210001
	s_cmp_lt_i32 s33, s51                                      // 000000005F00: BF043321
	s_cbranch_scc0 label_1098                                  // 000000005F04: BF840316
	global_atomic_add_f32 v4, v53, s[16:17]                    // 000000005F08: DD348000 00103504
	v_add_u32_e64 v4, v4, s31                                  // 000000005F10: D1340004 00003F04
	s_addk_i32 s33, 0x1                                        // 000000005F18: B7210001
	s_cmp_lt_i32 s33, s51                                      // 000000005F1C: BF043321
	s_cbranch_scc0 label_1098                                  // 000000005F20: BF84030F
	global_atomic_add_f32 v4, v54, s[16:17]                    // 000000005F24: DD348000 00103604
	v_add_u32_e64 v4, v4, s31                                  // 000000005F2C: D1340004 00003F04
	s_addk_i32 s33, 0x1                                        // 000000005F34: B7210001
	s_cmp_lt_i32 s33, s51                                      // 000000005F38: BF043321
	s_cbranch_scc0 label_1098                                  // 000000005F3C: BF840308
	global_atomic_add_f32 v4, v55, s[16:17]                    // 000000005F40: DD348000 00103704
	v_add_u32_e64 v4, v4, s31                                  // 000000005F48: D1340004 00003F04
	s_addk_i32 s33, 0x1                                        // 000000005F50: B7210001
	s_cmp_lt_i32 s33, s51                                      // 000000005F54: BF043321
	s_cbranch_scc0 label_1098                                  // 000000005F58: BF840301
	global_atomic_add_f32 v4, v56, s[16:17]                    // 000000005F5C: DD348000 00103804
	v_add_u32_e64 v4, v4, s31                                  // 000000005F64: D1340004 00003F04
	s_addk_i32 s33, 0x1                                        // 000000005F6C: B7210001
	s_cmp_lt_i32 s33, s51                                      // 000000005F70: BF043321
	s_cbranch_scc0 label_1098                                  // 000000005F74: BF8402FA
	global_atomic_add_f32 v4, v57, s[16:17]                    // 000000005F78: DD348000 00103904
	v_add_u32_e64 v4, v4, s31                                  // 000000005F80: D1340004 00003F04
	s_addk_i32 s33, 0x1                                        // 000000005F88: B7210001
	s_cmp_lt_i32 s33, s51                                      // 000000005F8C: BF043321
	s_cbranch_scc0 label_1098                                  // 000000005F90: BF8402F3
	global_atomic_add_f32 v4, v58, s[16:17]                    // 000000005F94: DD348000 00103A04
	v_add_u32_e64 v4, v4, s31                                  // 000000005F9C: D1340004 00003F04
	s_addk_i32 s33, 0x1                                        // 000000005FA4: B7210001
	s_cmp_lt_i32 s33, s51                                      // 000000005FA8: BF043321
	s_cbranch_scc0 label_1098                                  // 000000005FAC: BF8402EC
	global_atomic_add_f32 v4, v59, s[16:17]                    // 000000005FB0: DD348000 00103B04
	v_add_u32_e64 v4, v4, s31                                  // 000000005FB8: D1340004 00003F04
	s_addk_i32 s33, 0x1                                        // 000000005FC0: B7210001
	s_cmp_lt_i32 s33, s51                                      // 000000005FC4: BF043321
	s_cbranch_scc0 label_1098                                  // 000000005FC8: BF8402E5
	global_atomic_add_f32 v4, v60, s[16:17]                    // 000000005FCC: DD348000 00103C04
	v_add_u32_e64 v4, v4, s31                                  // 000000005FD4: D1340004 00003F04
	s_addk_i32 s33, 0x1                                        // 000000005FDC: B7210001
	s_cmp_lt_i32 s33, s51                                      // 000000005FE0: BF043321
	s_cbranch_scc0 label_1098                                  // 000000005FE4: BF8402DE
	global_atomic_add_f32 v4, v61, s[16:17]                    // 000000005FE8: DD348000 00103D04
	v_add_u32_e64 v4, v4, s31                                  // 000000005FF0: D1340004 00003F04
	s_addk_i32 s33, 0x1                                        // 000000005FF8: B7210001
	s_cmp_lt_i32 s33, s51                                      // 000000005FFC: BF043321
	s_cbranch_scc0 label_1098                                  // 000000006000: BF8402D7
	global_atomic_add_f32 v4, v62, s[16:17]                    // 000000006004: DD348000 00103E04
	v_add_u32_e64 v4, v4, s31                                  // 00000000600C: D1340004 00003F04
	s_addk_i32 s33, 0x1                                        // 000000006014: B7210001
	s_cmp_lt_i32 s33, s51                                      // 000000006018: BF043321
	s_cbranch_scc0 label_1098                                  // 00000000601C: BF8402D0
	global_atomic_add_f32 v4, v63, s[16:17]                    // 000000006020: DD348000 00103F04
	v_add_u32_e64 v4, v4, s31                                  // 000000006028: D1340004 00003F04
	s_addk_i32 s33, 0x1                                        // 000000006030: B7210001
	s_cmp_lt_i32 s33, s51                                      // 000000006034: BF043321
	s_cbranch_scc0 label_1098                                  // 000000006038: BF8402C9
	global_atomic_add_f32 v4, v64, s[16:17]                    // 00000000603C: DD348000 00104004
	v_add_u32_e64 v4, v4, s31                                  // 000000006044: D1340004 00003F04
	s_addk_i32 s33, 0x1                                        // 00000000604C: B7210001
	s_cmp_lt_i32 s33, s51                                      // 000000006050: BF043321
	s_cbranch_scc0 label_1098                                  // 000000006054: BF8402C2
	global_atomic_add_f32 v4, v65, s[16:17]                    // 000000006058: DD348000 00104104
	v_add_u32_e64 v4, v4, s31                                  // 000000006060: D1340004 00003F04
	s_addk_i32 s33, 0x1                                        // 000000006068: B7210001
	s_cmp_lt_i32 s33, s51                                      // 00000000606C: BF043321
	s_cbranch_scc0 label_1098                                  // 000000006070: BF8402BB
	global_atomic_add_f32 v4, v66, s[16:17]                    // 000000006074: DD348000 00104204
	v_add_u32_e64 v4, v4, s31                                  // 00000000607C: D1340004 00003F04
	s_addk_i32 s33, 0x1                                        // 000000006084: B7210001
	s_cmp_lt_i32 s33, s51                                      // 000000006088: BF043321
	s_cbranch_scc0 label_1098                                  // 00000000608C: BF8402B4
	global_atomic_add_f32 v4, v67, s[16:17]                    // 000000006090: DD348000 00104304
	v_add_u32_e64 v4, v4, s31                                  // 000000006098: D1340004 00003F04
	s_addk_i32 s33, 0x1                                        // 0000000060A0: B7210001
	s_branch label_1098                                        // 0000000060A4: BF8202AE

00000000000060a8 <label_0DEA>:
	v_lshrrev_b32_e32 v4, 4, v0                                // 0000000060A8: 20080084
	v_mul_u32_u24_e32 v31, 34, v4                              // 0000000060AC: 103E08A2
	v_and_b32_e32 v4, 15, v0                                   // 0000000060B0: 2608008F
	v_mul_lo_u32 v5, 2, v4                                     // 0000000060B4: D2850005 00020882
	v_add_u32_e32 v31, v5, v31                                 // 0000000060BC: 683E3F05
	s_mul_i32 s31, s24, 0x88                                   // 0000000060C0: 921FFF18 00000088
	v_add_u32_e32 v31, s31, v31                                // 0000000060C8: 683E3E1F
	v_lshlrev_b32_e32 v31, 2, v31                              // 0000000060CC: 243E3E82
	v_and_b32_e32 v4, 31, v0                                   // 0000000060D0: 2608009F
	v_lshrrev_b32_e32 v5, 1, v4                                // 0000000060D4: 200A0881
	v_mul_u32_u24_e32 v40, 34, v5                              // 0000000060D8: 10500AA2
	v_and_b32_e32 v5, 1, v4                                    // 0000000060DC: 260A0881
	v_add_u32_e32 v40, v5, v40                                 // 0000000060E0: 68505105
	v_lshrrev_b32_e32 v4, 5, v0                                // 0000000060E4: 20080085
	v_mul_u32_u24_e32 v4, 8, v4                                // 0000000060E8: 10080888
	v_add_u32_e32 v40, v4, v40                                 // 0000000060EC: 68505104
	s_mul_i32 s31, s24, 2                                      // 0000000060F0: 921F8218
	v_add_u32_e32 v40, s31, v40                                // 0000000060F4: 6850501F
	v_lshlrev_b32_e32 v40, 2, v40                              // 0000000060F8: 24505082
	s_lshr_b32 s31, s51, 2                                     // 0000000060FC: 8F1F8233
	s_and_b32 s32, s51, 3                                      // 000000006100: 86208333
	s_cmp_lt_u32 s24, s32                                      // 000000006104: BF0A2018
	s_cselect_b32 s32, 1, 0                                    // 000000006108: 85208081
	s_add_u32 s51, s31, s32                                    // 00000000610C: 8033201F
	s_mov_b32 s33, 0                                           // 000000006110: BEA10080
	s_waitcnt vmcnt(0) expcnt(0) lgkmcnt(0)                    // 000000006114: BF8C0000
	s_barrier                                                  // 000000006118: BF8A0000
	v_cmp_u_f32_e64 s[56:57], v44, v44                         // 00000000611C: D0480038 0002592C
	v_add3_u32 v8, v44, v11, 1                                 // 000000006124: D1FF0008 0206172C
	v_cndmask_b32_e64 v4, v8, v10, s[56:57]                    // 00000000612C: D1000004 00E21508
	v_cmp_u_f32_e64 s[56:57], v45, v45                         // 000000006134: D0480038 00025B2D
	v_add3_u32 v8, v45, v11, 1                                 // 00000000613C: D1FF0008 0206172D
	v_cndmask_b32_e64 v5, v8, v10, s[56:57]                    // 000000006144: D1000005 00E21508
	v_perm_b32 v68, v5, v4, s35                                // 00000000614C: D1ED0044 008E0905
	v_cmp_u_f32_e64 s[56:57], v46, v46                         // 000000006154: D0480038 00025D2E
	v_add3_u32 v8, v46, v11, 1                                 // 00000000615C: D1FF0008 0206172E
	v_cndmask_b32_e64 v4, v8, v10, s[56:57]                    // 000000006164: D1000004 00E21508
	v_cmp_u_f32_e64 s[56:57], v47, v47                         // 00000000616C: D0480038 00025F2F
	v_add3_u32 v8, v47, v11, 1                                 // 000000006174: D1FF0008 0206172F
	v_cndmask_b32_e64 v5, v8, v10, s[56:57]                    // 00000000617C: D1000005 00E21508
	v_perm_b32 v69, v5, v4, s35                                // 000000006184: D1ED0045 008E0905
	v_cmp_u_f32_e64 s[56:57], v48, v48                         // 00000000618C: D0480038 00026130
	v_add3_u32 v8, v48, v11, 1                                 // 000000006194: D1FF0008 02061730
	v_cndmask_b32_e64 v4, v8, v10, s[56:57]                    // 00000000619C: D1000004 00E21508
	v_cmp_u_f32_e64 s[56:57], v49, v49                         // 0000000061A4: D0480038 00026331
	v_add3_u32 v8, v49, v11, 1                                 // 0000000061AC: D1FF0008 02061731
	v_cndmask_b32_e64 v5, v8, v10, s[56:57]                    // 0000000061B4: D1000005 00E21508
	v_perm_b32 v70, v5, v4, s35                                // 0000000061BC: D1ED0046 008E0905
	v_cmp_u_f32_e64 s[56:57], v50, v50                         // 0000000061C4: D0480038 00026532
	v_add3_u32 v8, v50, v11, 1                                 // 0000000061CC: D1FF0008 02061732
	v_cndmask_b32_e64 v4, v8, v10, s[56:57]                    // 0000000061D4: D1000004 00E21508
	v_cmp_u_f32_e64 s[56:57], v51, v51                         // 0000000061DC: D0480038 00026733
	v_add3_u32 v8, v51, v11, 1                                 // 0000000061E4: D1FF0008 02061733
	v_cndmask_b32_e64 v5, v8, v10, s[56:57]                    // 0000000061EC: D1000005 00E21508
	v_perm_b32 v71, v5, v4, s35                                // 0000000061F4: D1ED0047 008E0905
	v_cmp_u_f32_e64 s[56:57], v52, v52                         // 0000000061FC: D0480038 00026934
	v_add3_u32 v8, v52, v11, 1                                 // 000000006204: D1FF0008 02061734
	v_cndmask_b32_e64 v4, v8, v10, s[56:57]                    // 00000000620C: D1000004 00E21508
	v_cmp_u_f32_e64 s[56:57], v53, v53                         // 000000006214: D0480038 00026B35
	v_add3_u32 v8, v53, v11, 1                                 // 00000000621C: D1FF0008 02061735
	v_cndmask_b32_e64 v5, v8, v10, s[56:57]                    // 000000006224: D1000005 00E21508
	v_perm_b32 v72, v5, v4, s35                                // 00000000622C: D1ED0048 008E0905
	v_cmp_u_f32_e64 s[56:57], v54, v54                         // 000000006234: D0480038 00026D36
	v_add3_u32 v8, v54, v11, 1                                 // 00000000623C: D1FF0008 02061736
	v_cndmask_b32_e64 v4, v8, v10, s[56:57]                    // 000000006244: D1000004 00E21508
	v_cmp_u_f32_e64 s[56:57], v55, v55                         // 00000000624C: D0480038 00026F37
	v_add3_u32 v8, v55, v11, 1                                 // 000000006254: D1FF0008 02061737
	v_cndmask_b32_e64 v5, v8, v10, s[56:57]                    // 00000000625C: D1000005 00E21508
	v_perm_b32 v73, v5, v4, s35                                // 000000006264: D1ED0049 008E0905
	v_cmp_u_f32_e64 s[56:57], v56, v56                         // 00000000626C: D0480038 00027138
	v_add3_u32 v8, v56, v11, 1                                 // 000000006274: D1FF0008 02061738
	v_cndmask_b32_e64 v4, v8, v10, s[56:57]                    // 00000000627C: D1000004 00E21508
	v_cmp_u_f32_e64 s[56:57], v57, v57                         // 000000006284: D0480038 00027339
	v_add3_u32 v8, v57, v11, 1                                 // 00000000628C: D1FF0008 02061739
	v_cndmask_b32_e64 v5, v8, v10, s[56:57]                    // 000000006294: D1000005 00E21508
	v_perm_b32 v74, v5, v4, s35                                // 00000000629C: D1ED004A 008E0905
	v_cmp_u_f32_e64 s[56:57], v58, v58                         // 0000000062A4: D0480038 0002753A
	v_add3_u32 v8, v58, v11, 1                                 // 0000000062AC: D1FF0008 0206173A
	v_cndmask_b32_e64 v4, v8, v10, s[56:57]                    // 0000000062B4: D1000004 00E21508
	v_cmp_u_f32_e64 s[56:57], v59, v59                         // 0000000062BC: D0480038 0002773B
	v_add3_u32 v8, v59, v11, 1                                 // 0000000062C4: D1FF0008 0206173B
	v_cndmask_b32_e64 v5, v8, v10, s[56:57]                    // 0000000062CC: D1000005 00E21508
	v_perm_b32 v75, v5, v4, s35                                // 0000000062D4: D1ED004B 008E0905
	v_cmp_u_f32_e64 s[56:57], v60, v60                         // 0000000062DC: D0480038 0002793C
	v_add3_u32 v8, v60, v11, 1                                 // 0000000062E4: D1FF0008 0206173C
	v_cndmask_b32_e64 v4, v8, v10, s[56:57]                    // 0000000062EC: D1000004 00E21508
	v_cmp_u_f32_e64 s[56:57], v61, v61                         // 0000000062F4: D0480038 00027B3D
	v_add3_u32 v8, v61, v11, 1                                 // 0000000062FC: D1FF0008 0206173D
	v_cndmask_b32_e64 v5, v8, v10, s[56:57]                    // 000000006304: D1000005 00E21508
	v_perm_b32 v76, v5, v4, s35                                // 00000000630C: D1ED004C 008E0905
	v_cmp_u_f32_e64 s[56:57], v62, v62                         // 000000006314: D0480038 00027D3E
	v_add3_u32 v8, v62, v11, 1                                 // 00000000631C: D1FF0008 0206173E
	v_cndmask_b32_e64 v4, v8, v10, s[56:57]                    // 000000006324: D1000004 00E21508
	v_cmp_u_f32_e64 s[56:57], v63, v63                         // 00000000632C: D0480038 00027F3F
	v_add3_u32 v8, v63, v11, 1                                 // 000000006334: D1FF0008 0206173F
	v_cndmask_b32_e64 v5, v8, v10, s[56:57]                    // 00000000633C: D1000005 00E21508
	v_perm_b32 v77, v5, v4, s35                                // 000000006344: D1ED004D 008E0905
	v_cmp_u_f32_e64 s[56:57], v64, v64                         // 00000000634C: D0480038 00028140
	v_add3_u32 v8, v64, v11, 1                                 // 000000006354: D1FF0008 02061740
	v_cndmask_b32_e64 v4, v8, v10, s[56:57]                    // 00000000635C: D1000004 00E21508
	v_cmp_u_f32_e64 s[56:57], v65, v65                         // 000000006364: D0480038 00028341
	v_add3_u32 v8, v65, v11, 1                                 // 00000000636C: D1FF0008 02061741
	v_cndmask_b32_e64 v5, v8, v10, s[56:57]                    // 000000006374: D1000005 00E21508
	v_perm_b32 v78, v5, v4, s35                                // 00000000637C: D1ED004E 008E0905
	v_cmp_u_f32_e64 s[56:57], v66, v66                         // 000000006384: D0480038 00028542
	v_add3_u32 v8, v66, v11, 1                                 // 00000000638C: D1FF0008 02061742
	v_cndmask_b32_e64 v4, v8, v10, s[56:57]                    // 000000006394: D1000004 00E21508
	v_cmp_u_f32_e64 s[56:57], v67, v67                         // 00000000639C: D0480038 00028743
	v_add3_u32 v8, v67, v11, 1                                 // 0000000063A4: D1FF0008 02061743
	v_cndmask_b32_e64 v5, v8, v10, s[56:57]                    // 0000000063AC: D1000005 00E21508
	v_perm_b32 v79, v5, v4, s35                                // 0000000063B4: D1ED004F 008E0905
	ds_write_b64 v31, v[68:69]                                 // 0000000063BC: D89A0000 0000441F
	ds_write_b64 v31, v[70:71] offset:2176                     // 0000000063C4: D89A0880 0000461F
	ds_write_b64 v31, v[72:73] offset:4352                     // 0000000063CC: D89A1100 0000481F
	ds_write_b64 v31, v[74:75] offset:6528                     // 0000000063D4: D89A1980 00004A1F
	ds_write_b64 v31, v[76:77] offset:8704                     // 0000000063DC: D89A2200 00004C1F
	ds_write_b64 v31, v[78:79] offset:10880                    // 0000000063E4: D89A2A80 00004E1F
	s_waitcnt lgkmcnt(0)                                       // 0000000063EC: BF8CC07F
	s_barrier                                                  // 0000000063F0: BF8A0000
	ds_read_b32 v68, v40                                       // 0000000063F4: D86C0000 44000028
	ds_read_b32 v69, v40 offset:64                             // 0000000063FC: D86C0040 45000028
	ds_read_b32 v70, v40 offset:2176                           // 000000006404: D86C0880 46000028
	ds_read_b32 v71, v40 offset:2240                           // 00000000640C: D86C08C0 47000028
	ds_read_b32 v72, v40 offset:4352                           // 000000006414: D86C1100 48000028
	ds_read_b32 v73, v40 offset:4416                           // 00000000641C: D86C1140 49000028
	ds_read_b32 v74, v40 offset:6528                           // 000000006424: D86C1980 4A000028
	ds_read_b32 v75, v40 offset:6592                           // 00000000642C: D86C19C0 4B000028
	ds_read_b32 v76, v40 offset:8704                           // 000000006434: D86C2200 4C000028
	ds_read_b32 v77, v40 offset:8768                           // 00000000643C: D86C2240 4D000028
	ds_read_b32 v78, v40 offset:10880                          // 000000006444: D86C2A80 4E000028
	ds_read_b32 v79, v40 offset:10944                          // 00000000644C: D86C2AC0 4F000028
	s_waitcnt lgkmcnt(0)                                       // 000000006454: BF8CC07F
	s_mul_i32 s31, s30, 8                                      // 000000006458: 921F881E
	v_mov_b32_e32 v4, v18                                      // 00000000645C: 7E080312
	s_cmp_lt_i32 s33, s51                                      // 000000006460: BF043321
	s_cbranch_scc0 label_1098                                  // 000000006464: BF8401BE
	s_mov_b32 s54, -1                                          // 000000006468: BEB600C1
	s_mov_b32 s55, 0                                           // 00000000646C: BEB70080
	s_mov_b64 exec, s[54:55]                                   // 000000006470: BEFE0136
	global_atomic_pk_add_bf16 v4, v68, s[16:17]                // 000000006474: DD488000 00104404
	s_addk_i32 s33, 0x1                                        // 00000000647C: B7210001
	s_cmp_lt_i32 s33, s51                                      // 000000006480: BF043321
	s_cbranch_scc0 label_1098                                  // 000000006484: BF8401B6
	s_mov_b32 s54, 0                                           // 000000006488: BEB60080
	s_mov_b32 s55, -1                                          // 00000000648C: BEB700C1
	s_mov_b64 exec, s[54:55]                                   // 000000006490: BEFE0136
	global_atomic_pk_add_bf16 v4, v68, s[16:17]                // 000000006494: DD488000 00104404
	s_addk_i32 s33, 0x1                                        // 00000000649C: B7210001
	s_mov_b32 s54, -1                                          // 0000000064A0: BEB600C1
	s_mov_b32 s55, -1                                          // 0000000064A4: BEB700C1
	s_mov_b64 exec, s[54:55]                                   // 0000000064A8: BEFE0136
	v_add_u32_e64 v4, v4, s31                                  // 0000000064AC: D1340004 00003F04
	s_cmp_lt_i32 s33, s51                                      // 0000000064B4: BF043321
	s_cbranch_scc0 label_1098                                  // 0000000064B8: BF8401A9
	s_mov_b32 s54, -1                                          // 0000000064BC: BEB600C1
	s_mov_b32 s55, 0                                           // 0000000064C0: BEB70080
	s_mov_b64 exec, s[54:55]                                   // 0000000064C4: BEFE0136
	global_atomic_pk_add_bf16 v4, v69, s[16:17]                // 0000000064C8: DD488000 00104504
	s_addk_i32 s33, 0x1                                        // 0000000064D0: B7210001
	s_cmp_lt_i32 s33, s51                                      // 0000000064D4: BF043321
	s_cbranch_scc0 label_1098                                  // 0000000064D8: BF8401A1
	s_mov_b32 s54, 0                                           // 0000000064DC: BEB60080
	s_mov_b32 s55, -1                                          // 0000000064E0: BEB700C1
	s_mov_b64 exec, s[54:55]                                   // 0000000064E4: BEFE0136
	global_atomic_pk_add_bf16 v4, v69, s[16:17]                // 0000000064E8: DD488000 00104504
	s_addk_i32 s33, 0x1                                        // 0000000064F0: B7210001
	s_mov_b32 s54, -1                                          // 0000000064F4: BEB600C1
	s_mov_b32 s55, -1                                          // 0000000064F8: BEB700C1
	s_mov_b64 exec, s[54:55]                                   // 0000000064FC: BEFE0136
	v_add_u32_e64 v4, v4, s31                                  // 000000006500: D1340004 00003F04
	s_cmp_lt_i32 s33, s51                                      // 000000006508: BF043321
	s_cbranch_scc0 label_1098                                  // 00000000650C: BF840194
	s_mov_b32 s54, -1                                          // 000000006510: BEB600C1
	s_mov_b32 s55, 0                                           // 000000006514: BEB70080
	s_mov_b64 exec, s[54:55]                                   // 000000006518: BEFE0136
	global_atomic_pk_add_bf16 v4, v70, s[16:17]                // 00000000651C: DD488000 00104604
	s_addk_i32 s33, 0x1                                        // 000000006524: B7210001
	s_cmp_lt_i32 s33, s51                                      // 000000006528: BF043321
	s_cbranch_scc0 label_1098                                  // 00000000652C: BF84018C
	s_mov_b32 s54, 0                                           // 000000006530: BEB60080
	s_mov_b32 s55, -1                                          // 000000006534: BEB700C1
	s_mov_b64 exec, s[54:55]                                   // 000000006538: BEFE0136
	global_atomic_pk_add_bf16 v4, v70, s[16:17]                // 00000000653C: DD488000 00104604
	s_addk_i32 s33, 0x1                                        // 000000006544: B7210001
	s_mov_b32 s54, -1                                          // 000000006548: BEB600C1
	s_mov_b32 s55, -1                                          // 00000000654C: BEB700C1
	s_mov_b64 exec, s[54:55]                                   // 000000006550: BEFE0136
	v_add_u32_e64 v4, v4, s31                                  // 000000006554: D1340004 00003F04
	s_cmp_lt_i32 s33, s51                                      // 00000000655C: BF043321
	s_cbranch_scc0 label_1098                                  // 000000006560: BF84017F
	s_mov_b32 s54, -1                                          // 000000006564: BEB600C1
	s_mov_b32 s55, 0                                           // 000000006568: BEB70080
	s_mov_b64 exec, s[54:55]                                   // 00000000656C: BEFE0136
	global_atomic_pk_add_bf16 v4, v71, s[16:17]                // 000000006570: DD488000 00104704
	s_addk_i32 s33, 0x1                                        // 000000006578: B7210001
	s_cmp_lt_i32 s33, s51                                      // 00000000657C: BF043321
	s_cbranch_scc0 label_1098                                  // 000000006580: BF840177
	s_mov_b32 s54, 0                                           // 000000006584: BEB60080
	s_mov_b32 s55, -1                                          // 000000006588: BEB700C1
	s_mov_b64 exec, s[54:55]                                   // 00000000658C: BEFE0136
	global_atomic_pk_add_bf16 v4, v71, s[16:17]                // 000000006590: DD488000 00104704
	s_addk_i32 s33, 0x1                                        // 000000006598: B7210001
	s_mov_b32 s54, -1                                          // 00000000659C: BEB600C1
	s_mov_b32 s55, -1                                          // 0000000065A0: BEB700C1
	s_mov_b64 exec, s[54:55]                                   // 0000000065A4: BEFE0136
	v_add_u32_e64 v4, v4, s31                                  // 0000000065A8: D1340004 00003F04
	s_cmp_lt_i32 s33, s51                                      // 0000000065B0: BF043321
	s_cbranch_scc0 label_1098                                  // 0000000065B4: BF84016A
	s_mov_b32 s54, -1                                          // 0000000065B8: BEB600C1
	s_mov_b32 s55, 0                                           // 0000000065BC: BEB70080
	s_mov_b64 exec, s[54:55]                                   // 0000000065C0: BEFE0136
	global_atomic_pk_add_bf16 v4, v72, s[16:17]                // 0000000065C4: DD488000 00104804
	s_addk_i32 s33, 0x1                                        // 0000000065CC: B7210001
	s_cmp_lt_i32 s33, s51                                      // 0000000065D0: BF043321
	s_cbranch_scc0 label_1098                                  // 0000000065D4: BF840162
	s_mov_b32 s54, 0                                           // 0000000065D8: BEB60080
	s_mov_b32 s55, -1                                          // 0000000065DC: BEB700C1
	s_mov_b64 exec, s[54:55]                                   // 0000000065E0: BEFE0136
	global_atomic_pk_add_bf16 v4, v72, s[16:17]                // 0000000065E4: DD488000 00104804
	s_addk_i32 s33, 0x1                                        // 0000000065EC: B7210001
	s_mov_b32 s54, -1                                          // 0000000065F0: BEB600C1
	s_mov_b32 s55, -1                                          // 0000000065F4: BEB700C1
	s_mov_b64 exec, s[54:55]                                   // 0000000065F8: BEFE0136
	v_add_u32_e64 v4, v4, s31                                  // 0000000065FC: D1340004 00003F04
	s_cmp_lt_i32 s33, s51                                      // 000000006604: BF043321
	s_cbranch_scc0 label_1098                                  // 000000006608: BF840155
	s_mov_b32 s54, -1                                          // 00000000660C: BEB600C1
	s_mov_b32 s55, 0                                           // 000000006610: BEB70080
	s_mov_b64 exec, s[54:55]                                   // 000000006614: BEFE0136
	global_atomic_pk_add_bf16 v4, v73, s[16:17]                // 000000006618: DD488000 00104904
	s_addk_i32 s33, 0x1                                        // 000000006620: B7210001
	s_cmp_lt_i32 s33, s51                                      // 000000006624: BF043321
	s_cbranch_scc0 label_1098                                  // 000000006628: BF84014D
	s_mov_b32 s54, 0                                           // 00000000662C: BEB60080
	s_mov_b32 s55, -1                                          // 000000006630: BEB700C1
	s_mov_b64 exec, s[54:55]                                   // 000000006634: BEFE0136
	global_atomic_pk_add_bf16 v4, v73, s[16:17]                // 000000006638: DD488000 00104904
	s_addk_i32 s33, 0x1                                        // 000000006640: B7210001
	s_mov_b32 s54, -1                                          // 000000006644: BEB600C1
	s_mov_b32 s55, -1                                          // 000000006648: BEB700C1
	s_mov_b64 exec, s[54:55]                                   // 00000000664C: BEFE0136
	v_add_u32_e64 v4, v4, s31                                  // 000000006650: D1340004 00003F04
	s_cmp_lt_i32 s33, s51                                      // 000000006658: BF043321
	s_cbranch_scc0 label_1098                                  // 00000000665C: BF840140
	s_mov_b32 s54, -1                                          // 000000006660: BEB600C1
	s_mov_b32 s55, 0                                           // 000000006664: BEB70080
	s_mov_b64 exec, s[54:55]                                   // 000000006668: BEFE0136
	global_atomic_pk_add_bf16 v4, v74, s[16:17]                // 00000000666C: DD488000 00104A04
	s_addk_i32 s33, 0x1                                        // 000000006674: B7210001
	s_cmp_lt_i32 s33, s51                                      // 000000006678: BF043321
	s_cbranch_scc0 label_1098                                  // 00000000667C: BF840138
	s_mov_b32 s54, 0                                           // 000000006680: BEB60080
	s_mov_b32 s55, -1                                          // 000000006684: BEB700C1
	s_mov_b64 exec, s[54:55]                                   // 000000006688: BEFE0136
	global_atomic_pk_add_bf16 v4, v74, s[16:17]                // 00000000668C: DD488000 00104A04
	s_addk_i32 s33, 0x1                                        // 000000006694: B7210001
	s_mov_b32 s54, -1                                          // 000000006698: BEB600C1
	s_mov_b32 s55, -1                                          // 00000000669C: BEB700C1
	s_mov_b64 exec, s[54:55]                                   // 0000000066A0: BEFE0136
	v_add_u32_e64 v4, v4, s31                                  // 0000000066A4: D1340004 00003F04
	s_cmp_lt_i32 s33, s51                                      // 0000000066AC: BF043321
	s_cbranch_scc0 label_1098                                  // 0000000066B0: BF84012B
	s_mov_b32 s54, -1                                          // 0000000066B4: BEB600C1
	s_mov_b32 s55, 0                                           // 0000000066B8: BEB70080
	s_mov_b64 exec, s[54:55]                                   // 0000000066BC: BEFE0136
	global_atomic_pk_add_bf16 v4, v75, s[16:17]                // 0000000066C0: DD488000 00104B04
	s_addk_i32 s33, 0x1                                        // 0000000066C8: B7210001
	s_cmp_lt_i32 s33, s51                                      // 0000000066CC: BF043321
	s_cbranch_scc0 label_1098                                  // 0000000066D0: BF840123
	s_mov_b32 s54, 0                                           // 0000000066D4: BEB60080
	s_mov_b32 s55, -1                                          // 0000000066D8: BEB700C1
	s_mov_b64 exec, s[54:55]                                   // 0000000066DC: BEFE0136
	global_atomic_pk_add_bf16 v4, v75, s[16:17]                // 0000000066E0: DD488000 00104B04
	s_addk_i32 s33, 0x1                                        // 0000000066E8: B7210001
	s_mov_b32 s54, -1                                          // 0000000066EC: BEB600C1
	s_mov_b32 s55, -1                                          // 0000000066F0: BEB700C1
	s_mov_b64 exec, s[54:55]                                   // 0000000066F4: BEFE0136
	v_add_u32_e64 v4, v4, s31                                  // 0000000066F8: D1340004 00003F04
	s_cmp_lt_i32 s33, s51                                      // 000000006700: BF043321
	s_cbranch_scc0 label_1098                                  // 000000006704: BF840116
	s_mov_b32 s54, -1                                          // 000000006708: BEB600C1
	s_mov_b32 s55, 0                                           // 00000000670C: BEB70080
	s_mov_b64 exec, s[54:55]                                   // 000000006710: BEFE0136
	global_atomic_pk_add_bf16 v4, v76, s[16:17]                // 000000006714: DD488000 00104C04
	s_addk_i32 s33, 0x1                                        // 00000000671C: B7210001
	s_cmp_lt_i32 s33, s51                                      // 000000006720: BF043321
	s_cbranch_scc0 label_1098                                  // 000000006724: BF84010E
	s_mov_b32 s54, 0                                           // 000000006728: BEB60080
	s_mov_b32 s55, -1                                          // 00000000672C: BEB700C1
	s_mov_b64 exec, s[54:55]                                   // 000000006730: BEFE0136
	global_atomic_pk_add_bf16 v4, v76, s[16:17]                // 000000006734: DD488000 00104C04
	s_addk_i32 s33, 0x1                                        // 00000000673C: B7210001
	s_mov_b32 s54, -1                                          // 000000006740: BEB600C1
	s_mov_b32 s55, -1                                          // 000000006744: BEB700C1
	s_mov_b64 exec, s[54:55]                                   // 000000006748: BEFE0136
	v_add_u32_e64 v4, v4, s31                                  // 00000000674C: D1340004 00003F04
	s_cmp_lt_i32 s33, s51                                      // 000000006754: BF043321
	s_cbranch_scc0 label_1098                                  // 000000006758: BF840101
	s_mov_b32 s54, -1                                          // 00000000675C: BEB600C1
	s_mov_b32 s55, 0                                           // 000000006760: BEB70080
	s_mov_b64 exec, s[54:55]                                   // 000000006764: BEFE0136
	global_atomic_pk_add_bf16 v4, v77, s[16:17]                // 000000006768: DD488000 00104D04
	s_addk_i32 s33, 0x1                                        // 000000006770: B7210001
	s_cmp_lt_i32 s33, s51                                      // 000000006774: BF043321
	s_cbranch_scc0 label_1098                                  // 000000006778: BF8400F9
	s_mov_b32 s54, 0                                           // 00000000677C: BEB60080
	s_mov_b32 s55, -1                                          // 000000006780: BEB700C1
	s_mov_b64 exec, s[54:55]                                   // 000000006784: BEFE0136
	global_atomic_pk_add_bf16 v4, v77, s[16:17]                // 000000006788: DD488000 00104D04
	s_addk_i32 s33, 0x1                                        // 000000006790: B7210001
	s_mov_b32 s54, -1                                          // 000000006794: BEB600C1
	s_mov_b32 s55, -1                                          // 000000006798: BEB700C1
	s_mov_b64 exec, s[54:55]                                   // 00000000679C: BEFE0136
	v_add_u32_e64 v4, v4, s31                                  // 0000000067A0: D1340004 00003F04
	s_cmp_lt_i32 s33, s51                                      // 0000000067A8: BF043321
	s_cbranch_scc0 label_1098                                  // 0000000067AC: BF8400EC
	s_mov_b32 s54, -1                                          // 0000000067B0: BEB600C1
	s_mov_b32 s55, 0                                           // 0000000067B4: BEB70080
	s_mov_b64 exec, s[54:55]                                   // 0000000067B8: BEFE0136
	global_atomic_pk_add_bf16 v4, v78, s[16:17]                // 0000000067BC: DD488000 00104E04
	s_addk_i32 s33, 0x1                                        // 0000000067C4: B7210001
	s_cmp_lt_i32 s33, s51                                      // 0000000067C8: BF043321
	s_cbranch_scc0 label_1098                                  // 0000000067CC: BF8400E4
	s_mov_b32 s54, 0                                           // 0000000067D0: BEB60080
	s_mov_b32 s55, -1                                          // 0000000067D4: BEB700C1
	s_mov_b64 exec, s[54:55]                                   // 0000000067D8: BEFE0136
	global_atomic_pk_add_bf16 v4, v78, s[16:17]                // 0000000067DC: DD488000 00104E04
	s_addk_i32 s33, 0x1                                        // 0000000067E4: B7210001
	s_mov_b32 s54, -1                                          // 0000000067E8: BEB600C1
	s_mov_b32 s55, -1                                          // 0000000067EC: BEB700C1
	s_mov_b64 exec, s[54:55]                                   // 0000000067F0: BEFE0136
	v_add_u32_e64 v4, v4, s31                                  // 0000000067F4: D1340004 00003F04
	s_cmp_lt_i32 s33, s51                                      // 0000000067FC: BF043321
	s_cbranch_scc0 label_1098                                  // 000000006800: BF8400D7
	s_mov_b32 s54, -1                                          // 000000006804: BEB600C1
	s_mov_b32 s55, 0                                           // 000000006808: BEB70080
	s_mov_b64 exec, s[54:55]                                   // 00000000680C: BEFE0136
	global_atomic_pk_add_bf16 v4, v79, s[16:17]                // 000000006810: DD488000 00104F04
	s_addk_i32 s33, 0x1                                        // 000000006818: B7210001
	s_cmp_lt_i32 s33, s51                                      // 00000000681C: BF043321
	s_cbranch_scc0 label_1098                                  // 000000006820: BF8400CF
	s_mov_b32 s54, 0                                           // 000000006824: BEB60080
	s_mov_b32 s55, -1                                          // 000000006828: BEB700C1
	s_mov_b64 exec, s[54:55]                                   // 00000000682C: BEFE0136
	global_atomic_pk_add_bf16 v4, v79, s[16:17]                // 000000006830: DD488000 00104F04
	s_addk_i32 s33, 0x1                                        // 000000006838: B7210001
	s_mov_b32 s54, -1                                          // 00000000683C: BEB600C1
	s_mov_b32 s55, -1                                          // 000000006840: BEB700C1
	s_mov_b64 exec, s[54:55]                                   // 000000006844: BEFE0136
	v_add_u32_e64 v4, v4, s31                                  // 000000006848: D1340004 00003F04
	s_branch label_1098                                        // 000000006850: BF8200C3

0000000000006854 <label_0FD5>:
	s_cmp_lt_u32 s50, 1                                        // 000000006854: BF0A8132
	s_cbranch_scc0 label_0FE4                                  // 000000006858: BF84000D
	buffer_store_dwordx4 v[44:47], v12, s[16:19], 0 offen      // 00000000685C: E07C1000 80042C0C
	buffer_store_dwordx4 v[48:51], v13, s[16:19], 0 offen      // 000000006864: E07C1000 8004300D
	buffer_store_dwordx4 v[52:55], v14, s[16:19], 0 offen      // 00000000686C: E07C1000 8004340E
	buffer_store_dwordx4 v[56:59], v15, s[16:19], 0 offen      // 000000006874: E07C1000 8004380F
	buffer_store_dwordx4 v[60:63], v16, s[16:19], 0 offen      // 00000000687C: E07C1000 80043C10
	buffer_store_dwordx4 v[64:67], v17, s[16:19], 0 offen      // 000000006884: E07C1000 80044011
	s_branch label_1098                                        // 00000000688C: BF8200B4

0000000000006890 <label_0FE4>:
	v_cmp_u_f32_e64 s[56:57], v44, v44                         // 000000006890: D0480038 0002592C
	v_add3_u32 v8, v44, v11, 1                                 // 000000006898: D1FF0008 0206172C
	v_cndmask_b32_e64 v4, v8, v10, s[56:57]                    // 0000000068A0: D1000004 00E21508
	v_cmp_u_f32_e64 s[56:57], v45, v45                         // 0000000068A8: D0480038 00025B2D
	v_add3_u32 v8, v45, v11, 1                                 // 0000000068B0: D1FF0008 0206172D
	v_cndmask_b32_e64 v5, v8, v10, s[56:57]                    // 0000000068B8: D1000005 00E21508
	v_perm_b32 v68, v5, v4, s35                                // 0000000068C0: D1ED0044 008E0905
	v_cmp_u_f32_e64 s[56:57], v46, v46                         // 0000000068C8: D0480038 00025D2E
	v_add3_u32 v8, v46, v11, 1                                 // 0000000068D0: D1FF0008 0206172E
	v_cndmask_b32_e64 v4, v8, v10, s[56:57]                    // 0000000068D8: D1000004 00E21508
	v_cmp_u_f32_e64 s[56:57], v47, v47                         // 0000000068E0: D0480038 00025F2F
	v_add3_u32 v8, v47, v11, 1                                 // 0000000068E8: D1FF0008 0206172F
	v_cndmask_b32_e64 v5, v8, v10, s[56:57]                    // 0000000068F0: D1000005 00E21508
	v_perm_b32 v69, v5, v4, s35                                // 0000000068F8: D1ED0045 008E0905
	buffer_store_dwordx2 v[68:69], v12, s[16:19], 0 offen      // 000000006900: E0741000 8004440C
	v_cmp_u_f32_e64 s[56:57], v48, v48                         // 000000006908: D0480038 00026130
	v_add3_u32 v8, v48, v11, 1                                 // 000000006910: D1FF0008 02061730
	v_cndmask_b32_e64 v4, v8, v10, s[56:57]                    // 000000006918: D1000004 00E21508
	v_cmp_u_f32_e64 s[56:57], v49, v49                         // 000000006920: D0480038 00026331
	v_add3_u32 v8, v49, v11, 1                                 // 000000006928: D1FF0008 02061731
	v_cndmask_b32_e64 v5, v8, v10, s[56:57]                    // 000000006930: D1000005 00E21508
	v_perm_b32 v70, v5, v4, s35                                // 000000006938: D1ED0046 008E0905
	v_cmp_u_f32_e64 s[56:57], v50, v50                         // 000000006940: D0480038 00026532
	v_add3_u32 v8, v50, v11, 1                                 // 000000006948: D1FF0008 02061732
	v_cndmask_b32_e64 v4, v8, v10, s[56:57]                    // 000000006950: D1000004 00E21508
	v_cmp_u_f32_e64 s[56:57], v51, v51                         // 000000006958: D0480038 00026733
	v_add3_u32 v8, v51, v11, 1                                 // 000000006960: D1FF0008 02061733
	v_cndmask_b32_e64 v5, v8, v10, s[56:57]                    // 000000006968: D1000005 00E21508
	v_perm_b32 v71, v5, v4, s35                                // 000000006970: D1ED0047 008E0905
	buffer_store_dwordx2 v[70:71], v13, s[16:19], 0 offen      // 000000006978: E0741000 8004460D
	v_cmp_u_f32_e64 s[56:57], v52, v52                         // 000000006980: D0480038 00026934
	v_add3_u32 v8, v52, v11, 1                                 // 000000006988: D1FF0008 02061734
	v_cndmask_b32_e64 v4, v8, v10, s[56:57]                    // 000000006990: D1000004 00E21508
	v_cmp_u_f32_e64 s[56:57], v53, v53                         // 000000006998: D0480038 00026B35
	v_add3_u32 v8, v53, v11, 1                                 // 0000000069A0: D1FF0008 02061735
	v_cndmask_b32_e64 v5, v8, v10, s[56:57]                    // 0000000069A8: D1000005 00E21508
	v_perm_b32 v72, v5, v4, s35                                // 0000000069B0: D1ED0048 008E0905
	v_cmp_u_f32_e64 s[56:57], v54, v54                         // 0000000069B8: D0480038 00026D36
	v_add3_u32 v8, v54, v11, 1                                 // 0000000069C0: D1FF0008 02061736
	v_cndmask_b32_e64 v4, v8, v10, s[56:57]                    // 0000000069C8: D1000004 00E21508
	v_cmp_u_f32_e64 s[56:57], v55, v55                         // 0000000069D0: D0480038 00026F37
	v_add3_u32 v8, v55, v11, 1                                 // 0000000069D8: D1FF0008 02061737
	v_cndmask_b32_e64 v5, v8, v10, s[56:57]                    // 0000000069E0: D1000005 00E21508
	v_perm_b32 v73, v5, v4, s35                                // 0000000069E8: D1ED0049 008E0905
	buffer_store_dwordx2 v[72:73], v14, s[16:19], 0 offen      // 0000000069F0: E0741000 8004480E
	v_cmp_u_f32_e64 s[56:57], v56, v56                         // 0000000069F8: D0480038 00027138
	v_add3_u32 v8, v56, v11, 1                                 // 000000006A00: D1FF0008 02061738
	v_cndmask_b32_e64 v4, v8, v10, s[56:57]                    // 000000006A08: D1000004 00E21508
	v_cmp_u_f32_e64 s[56:57], v57, v57                         // 000000006A10: D0480038 00027339
	v_add3_u32 v8, v57, v11, 1                                 // 000000006A18: D1FF0008 02061739
	v_cndmask_b32_e64 v5, v8, v10, s[56:57]                    // 000000006A20: D1000005 00E21508
	v_perm_b32 v74, v5, v4, s35                                // 000000006A28: D1ED004A 008E0905
	v_cmp_u_f32_e64 s[56:57], v58, v58                         // 000000006A30: D0480038 0002753A
	v_add3_u32 v8, v58, v11, 1                                 // 000000006A38: D1FF0008 0206173A
	v_cndmask_b32_e64 v4, v8, v10, s[56:57]                    // 000000006A40: D1000004 00E21508
	v_cmp_u_f32_e64 s[56:57], v59, v59                         // 000000006A48: D0480038 0002773B
	v_add3_u32 v8, v59, v11, 1                                 // 000000006A50: D1FF0008 0206173B
	v_cndmask_b32_e64 v5, v8, v10, s[56:57]                    // 000000006A58: D1000005 00E21508
	v_perm_b32 v75, v5, v4, s35                                // 000000006A60: D1ED004B 008E0905
	buffer_store_dwordx2 v[74:75], v15, s[16:19], 0 offen      // 000000006A68: E0741000 80044A0F
	v_cmp_u_f32_e64 s[56:57], v60, v60                         // 000000006A70: D0480038 0002793C
	v_add3_u32 v8, v60, v11, 1                                 // 000000006A78: D1FF0008 0206173C
	v_cndmask_b32_e64 v4, v8, v10, s[56:57]                    // 000000006A80: D1000004 00E21508
	v_cmp_u_f32_e64 s[56:57], v61, v61                         // 000000006A88: D0480038 00027B3D
	v_add3_u32 v8, v61, v11, 1                                 // 000000006A90: D1FF0008 0206173D
	v_cndmask_b32_e64 v5, v8, v10, s[56:57]                    // 000000006A98: D1000005 00E21508
	v_perm_b32 v76, v5, v4, s35                                // 000000006AA0: D1ED004C 008E0905
	v_cmp_u_f32_e64 s[56:57], v62, v62                         // 000000006AA8: D0480038 00027D3E
	v_add3_u32 v8, v62, v11, 1                                 // 000000006AB0: D1FF0008 0206173E
	v_cndmask_b32_e64 v4, v8, v10, s[56:57]                    // 000000006AB8: D1000004 00E21508
	v_cmp_u_f32_e64 s[56:57], v63, v63                         // 000000006AC0: D0480038 00027F3F
	v_add3_u32 v8, v63, v11, 1                                 // 000000006AC8: D1FF0008 0206173F
	v_cndmask_b32_e64 v5, v8, v10, s[56:57]                    // 000000006AD0: D1000005 00E21508
	v_perm_b32 v77, v5, v4, s35                                // 000000006AD8: D1ED004D 008E0905
	buffer_store_dwordx2 v[76:77], v16, s[16:19], 0 offen      // 000000006AE0: E0741000 80044C10
	v_cmp_u_f32_e64 s[56:57], v64, v64                         // 000000006AE8: D0480038 00028140
	v_add3_u32 v8, v64, v11, 1                                 // 000000006AF0: D1FF0008 02061740
	v_cndmask_b32_e64 v4, v8, v10, s[56:57]                    // 000000006AF8: D1000004 00E21508
	v_cmp_u_f32_e64 s[56:57], v65, v65                         // 000000006B00: D0480038 00028341
	v_add3_u32 v8, v65, v11, 1                                 // 000000006B08: D1FF0008 02061741
	v_cndmask_b32_e64 v5, v8, v10, s[56:57]                    // 000000006B10: D1000005 00E21508
	v_perm_b32 v78, v5, v4, s35                                // 000000006B18: D1ED004E 008E0905
	v_cmp_u_f32_e64 s[56:57], v66, v66                         // 000000006B20: D0480038 00028542
	v_add3_u32 v8, v66, v11, 1                                 // 000000006B28: D1FF0008 02061742
	v_cndmask_b32_e64 v4, v8, v10, s[56:57]                    // 000000006B30: D1000004 00E21508
	v_cmp_u_f32_e64 s[56:57], v67, v67                         // 000000006B38: D0480038 00028743
	v_add3_u32 v8, v67, v11, 1                                 // 000000006B40: D1FF0008 02061743
	v_cndmask_b32_e64 v5, v8, v10, s[56:57]                    // 000000006B48: D1000005 00E21508
	v_perm_b32 v79, v5, v4, s35                                // 000000006B50: D1ED004F 008E0905
	buffer_store_dwordx2 v[78:79], v17, s[16:19], 0 offen      // 000000006B58: E0741000 80044E11

0000000000006b60 <label_1098>:
	s_waitcnt vmcnt(0) expcnt(0) lgkmcnt(0)                    // 000000006B60: BF8C0000
	s_endpgm                                                   // 000000006B64: BF810000
